;; amdgpu-corpus repo=ROCm/rocFFT kind=compiled arch=gfx1201 opt=O3
	.text
	.amdgcn_target "amdgcn-amd-amdhsa--gfx1201"
	.amdhsa_code_object_version 6
	.protected	bluestein_single_fwd_len104_dim1_dp_op_CI_CI ; -- Begin function bluestein_single_fwd_len104_dim1_dp_op_CI_CI
	.globl	bluestein_single_fwd_len104_dim1_dp_op_CI_CI
	.p2align	8
	.type	bluestein_single_fwd_len104_dim1_dp_op_CI_CI,@function
bluestein_single_fwd_len104_dim1_dp_op_CI_CI: ; @bluestein_single_fwd_len104_dim1_dp_op_CI_CI
; %bb.0:
	s_load_b128 s[16:19], s[0:1], 0x28
	v_lshrrev_b32_e32 v52, 3, v0
	v_mov_b32_e32 v76, 0
	s_mov_b32 s2, exec_lo
	s_delay_alu instid0(VALU_DEP_2) | instskip(NEXT) | instid1(VALU_DEP_2)
	v_lshl_or_b32 v4, ttmp9, 3, v52
	v_mov_b32_e32 v5, v76
	s_wait_kmcnt 0x0
	s_delay_alu instid0(VALU_DEP_1)
	v_cmpx_gt_u64_e64 s[16:17], v[4:5]
	s_cbranch_execz .LBB0_10
; %bb.1:
	s_clause 0x1
	s_load_b128 s[4:7], s[0:1], 0x18
	s_load_b128 s[8:11], s[0:1], 0x0
	v_and_b32_e32 v7, 7, v0
	v_mov_b32_e32 v5, v4
	v_mul_u32_u24_e32 v180, 0x68, v52
	s_mov_b32 s28, 0x42a4c3d2
	s_mov_b32 s26, 0x66966769
	v_lshlrev_b32_e32 v178, 4, v7
	scratch_store_b64 off, v[5:6], off offset:4 ; 8-byte Folded Spill
	s_mov_b32 s24, 0x2ef20147
	s_mov_b32 s22, 0x24c2f84
	;; [unrolled: 1-line block ×3, first 2 shown]
	v_lshl_or_b32 v176, v180, 4, v178
	s_mov_b32 s35, 0xbfddbe06
	s_mov_b32 s34, 0x4267c47c
	;; [unrolled: 1-line block ×7, first 2 shown]
	s_wait_kmcnt 0x0
	s_load_b128 s[12:15], s[4:5], 0x0
	s_mov_b32 s30, 0xe00740e9
	s_mov_b32 s20, 0x1ea71119
	;; [unrolled: 1-line block ×10, first 2 shown]
	s_wait_kmcnt 0x0
	v_mad_co_u64_u32 v[0:1], null, s14, v4, 0
	v_mad_co_u64_u32 v[2:3], null, s12, v7, 0
	s_lshl_b64 s[2:3], s[12:13], 7
	s_delay_alu instid0(VALU_DEP_1) | instskip(SKIP_2) | instid1(VALU_DEP_1)
	v_mad_co_u64_u32 v[4:5], null, s15, v4, v[1:2]
	s_mov_b32 s14, 0xb2365da1
	s_mov_b32 s15, 0xbfd6b1d8
	v_mad_co_u64_u32 v[5:6], null, s13, v7, v[3:4]
	v_mov_b32_e32 v1, v4
	s_mov_b32 s12, 0xd0032e0c
	s_mov_b32 s13, 0xbfe7f3cc
	s_delay_alu instid0(VALU_DEP_1) | instskip(NEXT) | instid1(VALU_DEP_3)
	v_lshlrev_b64_e32 v[0:1], 4, v[0:1]
	v_mov_b32_e32 v3, v5
	s_delay_alu instid0(VALU_DEP_2) | instskip(NEXT) | instid1(VALU_DEP_2)
	v_add_co_u32 v0, vcc_lo, s18, v0
	v_lshlrev_b64_e32 v[2:3], 4, v[2:3]
	s_delay_alu instid0(VALU_DEP_4) | instskip(SKIP_2) | instid1(VALU_DEP_2)
	v_add_co_ci_u32_e32 v1, vcc_lo, s19, v1, vcc_lo
	s_mov_b32 s18, 0xebaa3ed8
	s_mov_b32 s19, 0x3fbedb7d
	v_add_co_u32 v0, vcc_lo, v0, v2
	s_wait_alu 0xfffd
	v_add_co_ci_u32_e32 v1, vcc_lo, v1, v3, vcc_lo
	s_delay_alu instid0(VALU_DEP_2) | instskip(SKIP_1) | instid1(VALU_DEP_2)
	v_add_co_u32 v8, vcc_lo, v0, s2
	s_wait_alu 0xfffd
	v_add_co_ci_u32_e32 v9, vcc_lo, s3, v1, vcc_lo
	global_load_b128 v[12:15], v[0:1], off
	s_clause 0x1
	global_load_b128 v[34:37], v178, s[8:9]
	global_load_b128 v[0:3], v178, s[8:9] offset:128
	global_load_b128 v[16:19], v[8:9], off
	v_add_co_u32 v24, vcc_lo, v8, s2
	s_wait_alu 0xfffd
	v_add_co_ci_u32_e32 v25, vcc_lo, s3, v9, vcc_lo
	global_load_b128 v[20:23], v[24:25], off
	global_load_b128 v[8:11], v178, s[8:9] offset:256
	v_add_co_u32 v24, vcc_lo, v24, s2
	s_wait_alu 0xfffd
	v_add_co_ci_u32_e32 v25, vcc_lo, s3, v25, vcc_lo
	s_wait_loadcnt 0x4
	v_mul_f64_e32 v[26:27], v[14:15], v[36:37]
	v_mul_f64_e32 v[28:29], v[12:13], v[36:37]
	s_wait_loadcnt 0x2
	v_mul_f64_e32 v[30:31], v[18:19], v[2:3]
	v_mul_f64_e32 v[32:33], v[16:17], v[2:3]
	s_clause 0x1
	scratch_store_b128 off, v[34:37], off offset:28
	scratch_store_b128 off, v[0:3], off offset:12
	v_fma_f64 v[53:54], v[12:13], v[34:35], v[26:27]
	v_fma_f64 v[55:56], v[14:15], v[34:35], -v[28:29]
	global_load_b128 v[12:15], v178, s[8:9] offset:384
	v_fma_f64 v[57:58], v[16:17], v[0:1], v[30:31]
	v_fma_f64 v[59:60], v[18:19], v[0:1], -v[32:33]
	s_wait_loadcnt 0x1
	v_mul_f64_e32 v[16:17], v[22:23], v[10:11]
	v_mul_f64_e32 v[18:19], v[20:21], v[10:11]
	v_add_co_u32 v28, vcc_lo, v24, s2
	s_wait_alu 0xfffd
	v_add_co_ci_u32_e32 v29, vcc_lo, s3, v25, vcc_lo
	scratch_store_b128 off, v[8:11], off offset:44 ; 16-byte Folded Spill
	v_fma_f64 v[61:62], v[20:21], v[8:9], v[16:17]
	v_fma_f64 v[63:64], v[22:23], v[8:9], -v[18:19]
	s_clause 0x1
	global_load_b128 v[16:19], v[24:25], off
	global_load_b128 v[24:27], v[28:29], off
	v_add_co_u32 v28, vcc_lo, v28, s2
	s_wait_alu 0xfffd
	v_add_co_ci_u32_e32 v29, vcc_lo, s3, v29, vcc_lo
	s_delay_alu instid0(VALU_DEP_2) | instskip(SKIP_1) | instid1(VALU_DEP_2)
	v_add_co_u32 v36, vcc_lo, v28, s2
	s_wait_alu 0xfffd
	v_add_co_ci_u32_e32 v37, vcc_lo, s3, v29, vcc_lo
	s_wait_loadcnt 0x2
	scratch_store_b128 off, v[12:15], off offset:60 ; 16-byte Folded Spill
	s_clause 0x1
	global_load_b128 v[0:3], v178, s[8:9] offset:512
	global_load_b128 v[8:11], v178, s[8:9] offset:640
	s_wait_loadcnt 0x3
	v_mul_f64_e32 v[20:21], v[18:19], v[14:15]
	v_mul_f64_e32 v[22:23], v[16:17], v[14:15]
	s_delay_alu instid0(VALU_DEP_2) | instskip(NEXT) | instid1(VALU_DEP_2)
	v_fma_f64 v[65:66], v[16:17], v[12:13], v[20:21]
	v_fma_f64 v[67:68], v[18:19], v[12:13], -v[22:23]
	s_wait_loadcnt 0x1
	v_mul_f64_e32 v[30:31], v[26:27], v[2:3]
	v_mul_f64_e32 v[32:33], v[24:25], v[2:3]
	scratch_store_b128 off, v[0:3], off offset:76 ; 16-byte Folded Spill
	s_wait_loadcnt 0x0
	scratch_store_b128 off, v[8:11], off offset:92 ; 16-byte Folded Spill
	v_fma_f64 v[69:70], v[24:25], v[0:1], v[30:31]
	v_fma_f64 v[71:72], v[26:27], v[0:1], -v[32:33]
	global_load_b128 v[24:27], v[28:29], off
	s_wait_loadcnt 0x0
	v_mul_f64_e32 v[30:31], v[26:27], v[10:11]
	v_mul_f64_e32 v[32:33], v[24:25], v[10:11]
	s_delay_alu instid0(VALU_DEP_2) | instskip(NEXT) | instid1(VALU_DEP_2)
	v_fma_f64 v[77:78], v[24:25], v[8:9], v[30:31]
	v_fma_f64 v[79:80], v[26:27], v[8:9], -v[32:33]
	global_load_b128 v[32:35], v[36:37], off
	s_clause 0x1
	global_load_b128 v[0:3], v178, s[8:9] offset:768
	global_load_b128 v[8:11], v178, s[8:9] offset:896
	v_add_co_u32 v36, vcc_lo, v36, s2
	s_wait_alu 0xfffd
	v_add_co_ci_u32_e32 v37, vcc_lo, s3, v37, vcc_lo
	s_delay_alu instid0(VALU_DEP_2) | instskip(SKIP_1) | instid1(VALU_DEP_2)
	v_add_co_u32 v44, vcc_lo, v36, s2
	s_wait_alu 0xfffd
	v_add_co_ci_u32_e32 v45, vcc_lo, s3, v37, vcc_lo
	s_wait_loadcnt 0x1
	v_mul_f64_e32 v[38:39], v[34:35], v[2:3]
	v_mul_f64_e32 v[40:41], v[32:33], v[2:3]
	scratch_store_b128 off, v[0:3], off offset:108 ; 16-byte Folded Spill
	s_wait_loadcnt 0x0
	scratch_store_b128 off, v[8:11], off offset:124 ; 16-byte Folded Spill
	v_fma_f64 v[81:82], v[32:33], v[0:1], v[38:39]
	v_fma_f64 v[83:84], v[34:35], v[0:1], -v[40:41]
	global_load_b128 v[32:35], v[36:37], off
	s_wait_loadcnt 0x0
	v_mul_f64_e32 v[38:39], v[34:35], v[10:11]
	v_mul_f64_e32 v[40:41], v[32:33], v[10:11]
	s_delay_alu instid0(VALU_DEP_2) | instskip(NEXT) | instid1(VALU_DEP_2)
	v_fma_f64 v[85:86], v[32:33], v[8:9], v[38:39]
	v_fma_f64 v[87:88], v[34:35], v[8:9], -v[40:41]
	global_load_b128 v[40:43], v[44:45], off
	s_clause 0x1
	global_load_b128 v[0:3], v178, s[8:9] offset:1024
	global_load_b128 v[8:11], v178, s[8:9] offset:1152
	v_add_co_u32 v44, vcc_lo, v44, s2
	s_wait_alu 0xfffd
	v_add_co_ci_u32_e32 v45, vcc_lo, s3, v45, vcc_lo
	s_delay_alu instid0(VALU_DEP_2) | instskip(SKIP_1) | instid1(VALU_DEP_2)
	v_add_co_u32 v73, vcc_lo, v44, s2
	s_wait_alu 0xfffd
	v_add_co_ci_u32_e32 v74, vcc_lo, s3, v45, vcc_lo
	s_wait_loadcnt 0x1
	v_mul_f64_e32 v[46:47], v[42:43], v[2:3]
	v_mul_f64_e32 v[48:49], v[40:41], v[2:3]
	scratch_store_b128 off, v[0:3], off offset:140 ; 16-byte Folded Spill
	s_wait_loadcnt 0x0
	scratch_store_b128 off, v[8:11], off offset:156 ; 16-byte Folded Spill
	v_fma_f64 v[89:90], v[40:41], v[0:1], v[46:47]
	v_fma_f64 v[91:92], v[42:43], v[0:1], -v[48:49]
	global_load_b128 v[40:43], v[44:45], off
	s_wait_loadcnt 0x0
	v_mul_f64_e32 v[46:47], v[42:43], v[10:11]
	v_mul_f64_e32 v[48:49], v[40:41], v[10:11]
	s_delay_alu instid0(VALU_DEP_2) | instskip(NEXT) | instid1(VALU_DEP_2)
	v_fma_f64 v[93:94], v[40:41], v[8:9], v[46:47]
	v_fma_f64 v[95:96], v[42:43], v[8:9], -v[48:49]
	global_load_b128 v[48:51], v[73:74], off
	s_clause 0x1
	global_load_b128 v[0:3], v178, s[8:9] offset:1280
	global_load_b128 v[8:11], v178, s[8:9] offset:1408
	v_add_co_u32 v73, vcc_lo, v73, s2
	s_wait_alu 0xfffd
	v_add_co_ci_u32_e32 v74, vcc_lo, s3, v74, vcc_lo
	s_wait_loadcnt 0x1
	v_mul_f64_e32 v[97:98], v[50:51], v[2:3]
	v_mul_f64_e32 v[99:100], v[48:49], v[2:3]
	scratch_store_b128 off, v[0:3], off offset:172 ; 16-byte Folded Spill
	s_wait_loadcnt 0x0
	scratch_store_b128 off, v[8:11], off offset:188 ; 16-byte Folded Spill
	v_fma_f64 v[97:98], v[48:49], v[0:1], v[97:98]
	v_fma_f64 v[99:100], v[50:51], v[0:1], -v[99:100]
	global_load_b128 v[48:51], v[73:74], off
	s_wait_loadcnt 0x0
	v_mul_f64_e32 v[101:102], v[50:51], v[10:11]
	v_mul_f64_e32 v[103:104], v[48:49], v[10:11]
	s_delay_alu instid0(VALU_DEP_2)
	v_fma_f64 v[101:102], v[48:49], v[8:9], v[101:102]
	v_add_co_u32 v48, vcc_lo, v73, s2
	s_wait_alu 0xfffd
	v_add_co_ci_u32_e32 v49, vcc_lo, s3, v74, vcc_lo
	global_load_b128 v[105:108], v[48:49], off
	global_load_b128 v[0:3], v178, s[8:9] offset:1536
	v_fma_f64 v[103:104], v[50:51], v[8:9], -v[103:104]
	s_mov_b32 s2, 0x93053d00
	s_mov_b32 s3, 0xbfef11f4
	s_wait_loadcnt 0x0
	v_mul_f64_e32 v[73:74], v[107:108], v[2:3]
	v_mul_f64_e32 v[109:110], v[105:106], v[2:3]
	scratch_store_b128 off, v[0:3], off offset:204 ; 16-byte Folded Spill
	v_fma_f64 v[105:106], v[105:106], v[0:1], v[73:74]
	v_fma_f64 v[107:108], v[107:108], v[0:1], -v[109:110]
	v_or_b32_e32 v0, v180, v7
	s_delay_alu instid0(VALU_DEP_1)
	v_lshlrev_b32_e32 v40, 4, v0
	v_mul_u32_u24_e32 v0, 13, v7
	ds_store_b128 v40, v[53:56]
	ds_store_b128 v176, v[57:60] offset:128
	ds_store_b128 v176, v[61:64] offset:256
	;; [unrolled: 1-line block ×12, first 2 shown]
	s_load_b128 s[4:7], s[6:7], 0x0
	global_wb scope:SCOPE_SE
	s_wait_storecnt_dscnt 0x0
	s_wait_kmcnt 0x0
	s_barrier_signal -1
	s_barrier_wait -1
	global_inv scope:SCOPE_SE
	ds_load_b128 v[52:55], v40
	ds_load_b128 v[56:59], v176 offset:128
	ds_load_b128 v[60:63], v176 offset:256
	;; [unrolled: 1-line block ×3, first 2 shown]
	v_add_lshl_u32 v179, v180, v0, 4
	s_wait_dscnt 0x2
	v_add_f64_e32 v[68:69], v[52:53], v[56:57]
	v_add_f64_e32 v[70:71], v[54:55], v[58:59]
	s_wait_dscnt 0x1
	s_delay_alu instid0(VALU_DEP_2) | instskip(NEXT) | instid1(VALU_DEP_2)
	v_add_f64_e32 v[68:69], v[68:69], v[60:61]
	v_add_f64_e32 v[70:71], v[70:71], v[62:63]
	s_wait_dscnt 0x0
	s_delay_alu instid0(VALU_DEP_2) | instskip(NEXT) | instid1(VALU_DEP_2)
	v_add_f64_e32 v[77:78], v[68:69], v[64:65]
	v_add_f64_e32 v[79:80], v[70:71], v[66:67]
	ds_load_b128 v[68:71], v176 offset:512
	ds_load_b128 v[72:75], v176 offset:640
	;; [unrolled: 1-line block ×6, first 2 shown]
	s_wait_dscnt 0x5
	v_add_f64_e32 v[77:78], v[77:78], v[68:69]
	v_add_f64_e32 v[79:80], v[79:80], v[70:71]
	s_wait_dscnt 0x4
	s_delay_alu instid0(VALU_DEP_2) | instskip(NEXT) | instid1(VALU_DEP_2)
	v_add_f64_e32 v[77:78], v[77:78], v[72:73]
	v_add_f64_e32 v[79:80], v[79:80], v[74:75]
	s_wait_dscnt 0x3
	s_delay_alu instid0(VALU_DEP_2) | instskip(NEXT) | instid1(VALU_DEP_2)
	v_add_f64_e32 v[89:90], v[77:78], v[81:82]
	v_add_f64_e32 v[91:92], v[79:80], v[83:84]
	s_wait_dscnt 0x2
	v_add_f64_e32 v[77:78], v[81:82], v[85:86]
	v_add_f64_e32 v[79:80], v[83:84], v[87:88]
	v_add_f64_e64 v[81:82], v[81:82], -v[85:86]
	v_add_f64_e64 v[83:84], v[83:84], -v[87:88]
	v_add_f64_e32 v[101:102], v[89:90], v[85:86]
	v_add_f64_e32 v[103:104], v[91:92], v[87:88]
	s_wait_dscnt 0x1
	v_add_f64_e32 v[85:86], v[72:73], v[93:94]
	v_add_f64_e32 v[87:88], v[74:75], v[95:96]
	v_add_f64_e64 v[89:90], v[72:73], -v[93:94]
	v_add_f64_e64 v[91:92], v[74:75], -v[95:96]
	s_wait_dscnt 0x0
	v_add_f64_e32 v[72:73], v[68:69], v[97:98]
	v_add_f64_e32 v[74:75], v[70:71], v[99:100]
	v_add_f64_e64 v[68:69], v[68:69], -v[97:98]
	v_add_f64_e64 v[70:71], v[70:71], -v[99:100]
	v_mul_f64_e32 v[199:200], s[22:23], v[83:84]
	v_mul_f64_e32 v[201:202], s[22:23], v[81:82]
	;; [unrolled: 1-line block ×4, first 2 shown]
	v_add_f64_e32 v[93:94], v[101:102], v[93:94]
	v_add_f64_e32 v[95:96], v[103:104], v[95:96]
	v_mul_f64_e32 v[170:171], s[36:37], v[89:90]
	v_mul_f64_e32 v[168:169], s[36:37], v[91:92]
	;; [unrolled: 1-line block ×8, first 2 shown]
	v_add_f64_e32 v[101:102], v[93:94], v[97:98]
	v_add_f64_e32 v[103:104], v[95:96], v[99:100]
	ds_load_b128 v[93:96], v176 offset:1280
	ds_load_b128 v[97:100], v176 offset:1408
	s_wait_dscnt 0x1
	v_add_f64_e32 v[105:106], v[64:65], v[93:94]
	v_add_f64_e32 v[124:125], v[66:67], v[95:96]
	v_add_f64_e64 v[126:127], v[64:65], -v[93:94]
	v_add_f64_e64 v[128:129], v[66:67], -v[95:96]
	s_wait_dscnt 0x0
	v_add_f64_e64 v[130:131], v[60:61], -v[97:98]
	v_add_f64_e64 v[132:133], v[62:63], -v[99:100]
	v_add_f64_e32 v[134:135], v[60:61], v[97:98]
	v_add_f64_e32 v[136:137], v[62:63], v[99:100]
	ds_load_b128 v[60:63], v176 offset:1536
	global_wb scope:SCOPE_SE
	s_wait_dscnt 0x0
	s_barrier_signal -1
	s_barrier_wait -1
	global_inv scope:SCOPE_SE
	v_add_f64_e32 v[64:65], v[101:102], v[93:94]
	v_add_f64_e32 v[66:67], v[103:104], v[95:96]
	v_add_f64_e64 v[93:94], v[58:59], -v[62:63]
	v_add_f64_e64 v[95:96], v[56:57], -v[60:61]
	v_mul_f64_e32 v[162:163], s[16:17], v[126:127]
	v_mul_f64_e32 v[160:161], s[16:17], v[128:129]
	;; [unrolled: 1-line block ×8, first 2 shown]
	s_mov_b32 s39, 0x3fcea1e5
	s_mov_b32 s38, s16
	;; [unrolled: 1-line block ×3, first 2 shown]
	s_wait_alu 0xfffe
	v_mul_f64_e32 v[215:216], s[38:39], v[91:92]
	v_mul_f64_e32 v[217:218], s[38:39], v[89:90]
	s_mov_b32 s40, s28
	v_mul_f64_e32 v[223:224], s[36:37], v[132:133]
	v_add_f64_e32 v[64:65], v[64:65], v[97:98]
	v_add_f64_e32 v[66:67], v[66:67], v[99:100]
	;; [unrolled: 1-line block ×4, first 2 shown]
	s_wait_alu 0xfffe
	v_mul_f64_e32 v[219:220], s[40:41], v[83:84]
	v_mul_f64_e32 v[221:222], s[40:41], v[81:82]
	;; [unrolled: 1-line block ×10, first 2 shown]
	v_add_f64_e32 v[56:57], v[64:65], v[60:61]
	v_add_f64_e32 v[58:59], v[66:67], v[62:63]
	v_mul_f64_e32 v[60:61], s[34:35], v[93:94]
	v_mul_f64_e32 v[62:63], s[28:29], v[93:94]
	;; [unrolled: 1-line block ×5, first 2 shown]
	v_fma_f64 v[113:114], v[97:98], s[12:13], -v[101:102]
	v_fma_f64 v[101:102], v[97:98], s[12:13], v[101:102]
	v_fma_f64 v[142:143], v[99:100], s[20:21], v[117:118]
	;; [unrolled: 1-line block ×3, first 2 shown]
	v_fma_f64 v[117:118], v[99:100], s[20:21], -v[117:118]
	v_fma_f64 v[144:145], v[99:100], s[18:19], v[119:120]
	v_fma_f64 v[138:139], v[99:100], s[12:13], -v[138:139]
	v_fma_f64 v[119:120], v[99:100], s[18:19], -v[119:120]
	v_fma_f64 v[146:147], v[99:100], s[14:15], v[121:122]
	v_fma_f64 v[121:122], v[99:100], s[14:15], -v[121:122]
	;; [unrolled: 3-line block ×3, first 2 shown]
	v_fma_f64 v[62:63], v[97:98], s[20:21], v[62:63]
	v_fma_f64 v[109:110], v[97:98], s[18:19], -v[64:65]
	v_fma_f64 v[64:65], v[97:98], s[18:19], v[64:65]
	v_fma_f64 v[111:112], v[97:98], s[14:15], -v[66:67]
	;; [unrolled: 2-line block ×3, first 2 shown]
	v_fma_f64 v[93:94], v[97:98], s[2:3], v[93:94]
	v_mul_f64_e32 v[97:98], s[34:35], v[95:96]
	v_mul_f64_e32 v[95:96], s[16:17], v[95:96]
	s_mov_b32 s35, 0x3fddbe06
	v_add_f64_e32 v[158:159], v[54:55], v[117:118]
	s_wait_alu 0xfffe
	v_mul_f64_e32 v[173:174], s[34:35], v[83:84]
	v_mul_f64_e32 v[181:182], s[34:35], v[81:82]
	v_add_f64_e32 v[119:120], v[54:55], v[119:120]
	v_mul_f64_e32 v[191:192], s[34:35], v[70:71]
	v_add_f64_e32 v[121:122], v[54:55], v[121:122]
	v_mul_f64_e32 v[193:194], s[34:35], v[68:69]
	v_mul_f64_e32 v[207:208], s[34:35], v[128:129]
	;; [unrolled: 1-line block ×5, first 2 shown]
	v_add_f64_e32 v[152:153], v[52:53], v[103:104]
	v_add_f64_e32 v[154:155], v[52:53], v[60:61]
	;; [unrolled: 1-line block ×10, first 2 shown]
	v_fma_f64 v[140:141], v[99:100], s[30:31], v[97:98]
	v_fma_f64 v[97:98], v[99:100], s[30:31], -v[97:98]
	v_fma_f64 v[150:151], v[99:100], s[2:3], v[95:96]
	v_fma_f64 v[95:96], v[99:100], s[2:3], -v[95:96]
	v_add_f64_e32 v[99:100], v[54:55], v[144:145]
	v_add_f64_e32 v[144:145], v[52:53], v[66:67]
	;; [unrolled: 1-line block ×3, first 2 shown]
	v_fma_f64 v[66:67], v[105:106], s[14:15], -v[187:188]
	v_fma_f64 v[93:94], v[105:106], s[30:31], -v[207:208]
	v_add_f64_e32 v[140:141], v[54:55], v[140:141]
	v_add_f64_e32 v[156:157], v[54:55], v[97:98]
	;; [unrolled: 1-line block ×6, first 2 shown]
	v_mul_f64_e32 v[148:149], s[24:25], v[132:133]
	v_add_f64_e32 v[115:116], v[54:55], v[150:151]
	v_mul_f64_e32 v[150:151], s[24:25], v[130:131]
	v_add_f64_e32 v[146:147], v[54:55], v[95:96]
	s_delay_alu instid0(VALU_DEP_4) | instskip(NEXT) | instid1(VALU_DEP_3)
	v_fma_f64 v[52:53], v[134:135], s[14:15], -v[148:149]
	v_fma_f64 v[54:55], v[136:137], s[14:15], v[150:151]
	s_delay_alu instid0(VALU_DEP_2) | instskip(SKIP_1) | instid1(VALU_DEP_3)
	v_add_f64_e32 v[52:53], v[52:53], v[60:61]
	v_fma_f64 v[60:61], v[105:106], s[2:3], -v[160:161]
	v_add_f64_e32 v[54:55], v[54:55], v[97:98]
	s_delay_alu instid0(VALU_DEP_2) | instskip(SKIP_1) | instid1(VALU_DEP_1)
	v_add_f64_e32 v[52:53], v[60:61], v[52:53]
	v_fma_f64 v[60:61], v[124:125], s[2:3], v[162:163]
	v_add_f64_e32 v[54:55], v[60:61], v[54:55]
	v_fma_f64 v[60:61], v[72:73], s[12:13], -v[164:165]
	s_delay_alu instid0(VALU_DEP_1) | instskip(SKIP_1) | instid1(VALU_DEP_1)
	v_add_f64_e32 v[52:53], v[60:61], v[52:53]
	v_fma_f64 v[60:61], v[74:75], s[12:13], v[166:167]
	v_add_f64_e32 v[54:55], v[60:61], v[54:55]
	v_fma_f64 v[60:61], v[85:86], s[18:19], -v[168:169]
	s_delay_alu instid0(VALU_DEP_1) | instskip(SKIP_1) | instid1(VALU_DEP_1)
	;; [unrolled: 5-line block ×3, first 2 shown]
	v_add_f64_e32 v[52:53], v[60:61], v[52:53]
	v_fma_f64 v[60:61], v[79:80], s[30:31], v[181:182]
	v_add_f64_e32 v[54:55], v[60:61], v[54:55]
	v_fma_f64 v[60:61], v[134:135], s[2:3], -v[183:184]
	s_delay_alu instid0(VALU_DEP_1) | instskip(SKIP_1) | instid1(VALU_DEP_2)
	v_add_f64_e32 v[60:61], v[60:61], v[62:63]
	v_fma_f64 v[62:63], v[136:137], s[2:3], v[185:186]
	v_add_f64_e32 v[60:61], v[66:67], v[60:61]
	s_delay_alu instid0(VALU_DEP_2) | instskip(SKIP_1) | instid1(VALU_DEP_1)
	v_add_f64_e32 v[62:63], v[62:63], v[99:100]
	v_fma_f64 v[66:67], v[124:125], s[14:15], v[189:190]
	v_add_f64_e32 v[62:63], v[66:67], v[62:63]
	v_fma_f64 v[66:67], v[72:73], s[30:31], -v[191:192]
	s_delay_alu instid0(VALU_DEP_1) | instskip(SKIP_1) | instid1(VALU_DEP_1)
	v_add_f64_e32 v[60:61], v[66:67], v[60:61]
	v_fma_f64 v[66:67], v[74:75], s[30:31], v[193:194]
	v_add_f64_e32 v[62:63], v[66:67], v[62:63]
	v_fma_f64 v[66:67], v[85:86], s[20:21], -v[195:196]
	s_delay_alu instid0(VALU_DEP_1) | instskip(SKIP_1) | instid1(VALU_DEP_1)
	v_add_f64_e32 v[60:61], v[66:67], v[60:61]
	v_fma_f64 v[66:67], v[87:88], s[20:21], v[197:198]
	v_add_f64_e32 v[62:63], v[66:67], v[62:63]
	v_fma_f64 v[66:67], v[77:78], s[12:13], -v[199:200]
	s_delay_alu instid0(VALU_DEP_1) | instskip(SKIP_1) | instid1(VALU_DEP_1)
	v_add_f64_e32 v[60:61], v[66:67], v[60:61]
	v_fma_f64 v[66:67], v[79:80], s[12:13], v[201:202]
	v_add_f64_e32 v[62:63], v[66:67], v[62:63]
	v_fma_f64 v[66:67], v[134:135], s[12:13], -v[203:204]
	s_delay_alu instid0(VALU_DEP_1) | instskip(SKIP_1) | instid1(VALU_DEP_2)
	v_add_f64_e32 v[64:65], v[66:67], v[64:65]
	v_fma_f64 v[66:67], v[136:137], s[12:13], v[205:206]
	v_add_f64_e32 v[64:65], v[93:94], v[64:65]
	s_delay_alu instid0(VALU_DEP_2) | instskip(SKIP_3) | instid1(VALU_DEP_3)
	v_add_f64_e32 v[66:67], v[66:67], v[103:104]
	v_fma_f64 v[93:94], v[124:125], s[30:31], v[209:210]
	v_mul_f64_e32 v[103:104], s[34:35], v[132:133]
	v_mul_f64_e32 v[132:133], s[28:29], v[132:133]
	v_add_f64_e32 v[66:67], v[93:94], v[66:67]
	v_fma_f64 v[93:94], v[72:73], s[18:19], -v[211:212]
	s_delay_alu instid0(VALU_DEP_1) | instskip(SKIP_1) | instid1(VALU_DEP_1)
	v_add_f64_e32 v[64:65], v[93:94], v[64:65]
	v_fma_f64 v[93:94], v[74:75], s[18:19], v[213:214]
	v_add_f64_e32 v[66:67], v[93:94], v[66:67]
	v_fma_f64 v[93:94], v[85:86], s[2:3], -v[215:216]
	s_delay_alu instid0(VALU_DEP_1) | instskip(SKIP_1) | instid1(VALU_DEP_1)
	v_add_f64_e32 v[64:65], v[93:94], v[64:65]
	v_fma_f64 v[93:94], v[87:88], s[2:3], v[217:218]
	;; [unrolled: 5-line block ×3, first 2 shown]
	v_add_f64_e32 v[66:67], v[93:94], v[66:67]
	v_fma_f64 v[93:94], v[134:135], s[18:19], -v[223:224]
	s_delay_alu instid0(VALU_DEP_1) | instskip(SKIP_1) | instid1(VALU_DEP_1)
	v_add_f64_e32 v[93:94], v[93:94], v[107:108]
	v_mul_f64_e32 v[107:108], s[36:37], v[130:131]
	v_fma_f64 v[95:96], v[136:137], s[18:19], v[107:108]
	v_fma_f64 v[107:108], v[136:137], s[18:19], -v[107:108]
	s_delay_alu instid0(VALU_DEP_2) | instskip(SKIP_1) | instid1(VALU_DEP_3)
	v_add_f64_e32 v[95:96], v[95:96], v[109:110]
	v_mul_f64_e32 v[109:110], s[28:29], v[128:129]
	v_add_f64_e32 v[107:108], v[107:108], v[113:114]
	v_fma_f64 v[113:114], v[79:80], s[14:15], -v[237:238]
	s_delay_alu instid0(VALU_DEP_3) | instskip(SKIP_1) | instid1(VALU_DEP_2)
	v_fma_f64 v[97:98], v[105:106], s[20:21], -v[109:110]
	v_fma_f64 v[109:110], v[105:106], s[20:21], v[109:110]
	v_add_f64_e32 v[93:94], v[97:98], v[93:94]
	v_fma_f64 v[97:98], v[124:125], s[20:21], v[225:226]
	s_delay_alu instid0(VALU_DEP_1) | instskip(SKIP_1) | instid1(VALU_DEP_1)
	v_add_f64_e32 v[95:96], v[97:98], v[95:96]
	v_fma_f64 v[97:98], v[72:73], s[2:3], -v[227:228]
	v_add_f64_e32 v[93:94], v[97:98], v[93:94]
	v_fma_f64 v[97:98], v[74:75], s[2:3], v[229:230]
	s_delay_alu instid0(VALU_DEP_1) | instskip(SKIP_1) | instid1(VALU_DEP_1)
	v_add_f64_e32 v[95:96], v[97:98], v[95:96]
	v_fma_f64 v[97:98], v[85:86], s[30:31], -v[231:232]
	;; [unrolled: 5-line block ×3, first 2 shown]
	v_add_f64_e32 v[93:94], v[97:98], v[93:94]
	v_fma_f64 v[97:98], v[79:80], s[14:15], v[237:238]
	s_delay_alu instid0(VALU_DEP_1) | instskip(SKIP_2) | instid1(VALU_DEP_2)
	v_add_f64_e32 v[95:96], v[97:98], v[95:96]
	v_fma_f64 v[97:98], v[134:135], s[30:31], -v[103:104]
	v_fma_f64 v[103:104], v[134:135], s[30:31], v[103:104]
	v_add_f64_e32 v[97:98], v[97:98], v[101:102]
	v_mul_f64_e32 v[101:102], s[34:35], v[130:131]
	s_delay_alu instid0(VALU_DEP_3) | instskip(SKIP_1) | instid1(VALU_DEP_3)
	v_add_f64_e32 v[103:104], v[103:104], v[138:139]
	v_mul_f64_e32 v[130:131], s[28:29], v[130:131]
	v_fma_f64 v[99:100], v[136:137], s[30:31], v[101:102]
	v_fma_f64 v[101:102], v[136:137], s[30:31], -v[101:102]
	s_delay_alu instid0(VALU_DEP_2) | instskip(SKIP_1) | instid1(VALU_DEP_3)
	v_add_f64_e32 v[99:100], v[99:100], v[115:116]
	v_mul_f64_e32 v[115:116], s[22:23], v[128:129]
	v_add_f64_e32 v[101:102], v[101:102], v[146:147]
	v_mul_f64_e32 v[128:129], s[26:27], v[128:129]
	s_delay_alu instid0(VALU_DEP_3) | instskip(SKIP_1) | instid1(VALU_DEP_2)
	v_fma_f64 v[239:240], v[105:106], s[12:13], -v[115:116]
	v_fma_f64 v[115:116], v[105:106], s[12:13], v[115:116]
	v_add_f64_e32 v[97:98], v[239:240], v[97:98]
	v_mul_f64_e32 v[239:240], s[22:23], v[126:127]
	s_delay_alu instid0(VALU_DEP_3) | instskip(SKIP_1) | instid1(VALU_DEP_3)
	v_add_f64_e32 v[103:104], v[115:116], v[103:104]
	v_mul_f64_e32 v[126:127], s[26:27], v[126:127]
	v_fma_f64 v[241:242], v[124:125], s[12:13], v[239:240]
	v_fma_f64 v[115:116], v[124:125], s[12:13], -v[239:240]
	s_delay_alu instid0(VALU_DEP_2) | instskip(SKIP_1) | instid1(VALU_DEP_3)
	v_add_f64_e32 v[99:100], v[241:242], v[99:100]
	v_mul_f64_e32 v[241:242], s[40:41], v[70:71]
	v_add_f64_e32 v[101:102], v[115:116], v[101:102]
	s_delay_alu instid0(VALU_DEP_2) | instskip(SKIP_1) | instid1(VALU_DEP_2)
	v_fma_f64 v[243:244], v[72:73], s[20:21], -v[241:242]
	v_fma_f64 v[115:116], v[72:73], s[20:21], v[241:242]
	v_add_f64_e32 v[97:98], v[243:244], v[97:98]
	v_mul_f64_e32 v[243:244], s[40:41], v[68:69]
	s_delay_alu instid0(VALU_DEP_3) | instskip(NEXT) | instid1(VALU_DEP_2)
	v_add_f64_e32 v[103:104], v[115:116], v[103:104]
	v_fma_f64 v[245:246], v[74:75], s[20:21], v[243:244]
	v_fma_f64 v[115:116], v[74:75], s[20:21], -v[243:244]
	s_delay_alu instid0(VALU_DEP_2) | instskip(SKIP_1) | instid1(VALU_DEP_3)
	v_add_f64_e32 v[99:100], v[245:246], v[99:100]
	v_mul_f64_e32 v[245:246], s[24:25], v[91:92]
	v_add_f64_e32 v[101:102], v[115:116], v[101:102]
	v_mul_f64_e32 v[91:92], s[22:23], v[91:92]
	s_delay_alu instid0(VALU_DEP_3) | instskip(SKIP_1) | instid1(VALU_DEP_2)
	v_fma_f64 v[247:248], v[85:86], s[14:15], -v[245:246]
	v_fma_f64 v[115:116], v[85:86], s[14:15], v[245:246]
	v_add_f64_e32 v[97:98], v[247:248], v[97:98]
	v_mul_f64_e32 v[247:248], s[24:25], v[89:90]
	s_delay_alu instid0(VALU_DEP_3) | instskip(SKIP_1) | instid1(VALU_DEP_3)
	v_add_f64_e32 v[103:104], v[115:116], v[103:104]
	v_mul_f64_e32 v[89:90], s[22:23], v[89:90]
	v_fma_f64 v[249:250], v[87:88], s[14:15], v[247:248]
	v_fma_f64 v[115:116], v[87:88], s[14:15], -v[247:248]
	s_delay_alu instid0(VALU_DEP_2) | instskip(SKIP_1) | instid1(VALU_DEP_3)
	v_add_f64_e32 v[99:100], v[249:250], v[99:100]
	v_mul_f64_e32 v[249:250], s[36:37], v[83:84]
	v_add_f64_e32 v[115:116], v[115:116], v[101:102]
	v_mul_f64_e32 v[83:84], s[16:17], v[83:84]
	s_delay_alu instid0(VALU_DEP_3) | instskip(SKIP_1) | instid1(VALU_DEP_2)
	v_fma_f64 v[251:252], v[77:78], s[18:19], -v[249:250]
	v_fma_f64 v[101:102], v[77:78], s[18:19], v[249:250]
	v_add_f64_e32 v[97:98], v[251:252], v[97:98]
	v_mul_f64_e32 v[251:252], s[36:37], v[81:82]
	s_delay_alu instid0(VALU_DEP_3) | instskip(SKIP_1) | instid1(VALU_DEP_3)
	v_add_f64_e32 v[101:102], v[101:102], v[103:104]
	v_mul_f64_e32 v[81:82], s[16:17], v[81:82]
	v_fma_f64 v[138:139], v[79:80], s[18:19], -v[251:252]
	v_fma_f64 v[253:254], v[79:80], s[18:19], v[251:252]
	s_delay_alu instid0(VALU_DEP_2) | instskip(SKIP_2) | instid1(VALU_DEP_4)
	v_add_f64_e32 v[103:104], v[138:139], v[115:116]
	v_fma_f64 v[115:116], v[134:135], s[18:19], v[223:224]
	v_fma_f64 v[138:139], v[79:80], s[20:21], -v[221:222]
	v_add_f64_e32 v[99:100], v[253:254], v[99:100]
	s_delay_alu instid0(VALU_DEP_3) | instskip(NEXT) | instid1(VALU_DEP_1)
	v_add_f64_e32 v[111:112], v[115:116], v[111:112]
	v_add_f64_e32 v[109:110], v[109:110], v[111:112]
	v_fma_f64 v[111:112], v[124:125], s[20:21], -v[225:226]
	s_delay_alu instid0(VALU_DEP_1) | instskip(SKIP_1) | instid1(VALU_DEP_1)
	v_add_f64_e32 v[107:108], v[111:112], v[107:108]
	v_fma_f64 v[111:112], v[72:73], s[2:3], v[227:228]
	v_add_f64_e32 v[109:110], v[111:112], v[109:110]
	v_fma_f64 v[111:112], v[74:75], s[2:3], -v[229:230]
	s_delay_alu instid0(VALU_DEP_1) | instskip(SKIP_1) | instid1(VALU_DEP_1)
	v_add_f64_e32 v[107:108], v[111:112], v[107:108]
	v_fma_f64 v[111:112], v[85:86], s[30:31], v[231:232]
	;; [unrolled: 5-line block ×3, first 2 shown]
	v_add_f64_e32 v[108:109], v[107:108], v[109:110]
	s_delay_alu instid0(VALU_DEP_3) | instskip(SKIP_2) | instid1(VALU_DEP_2)
	v_add_f64_e32 v[110:111], v[113:114], v[111:112]
	v_fma_f64 v[112:113], v[134:135], s[12:13], v[203:204]
	v_fma_f64 v[114:115], v[136:137], s[12:13], -v[205:206]
	v_add_f64_e32 v[112:113], v[112:113], v[144:145]
	s_delay_alu instid0(VALU_DEP_2) | instskip(SKIP_1) | instid1(VALU_DEP_1)
	v_add_f64_e32 v[114:115], v[114:115], v[121:122]
	v_fma_f64 v[121:122], v[105:106], s[30:31], v[207:208]
	v_add_f64_e32 v[112:113], v[121:122], v[112:113]
	v_fma_f64 v[121:122], v[124:125], s[30:31], -v[209:210]
	s_delay_alu instid0(VALU_DEP_1) | instskip(SKIP_1) | instid1(VALU_DEP_1)
	v_add_f64_e32 v[114:115], v[121:122], v[114:115]
	v_fma_f64 v[121:122], v[72:73], s[18:19], v[211:212]
	v_add_f64_e32 v[112:113], v[121:122], v[112:113]
	v_fma_f64 v[121:122], v[74:75], s[18:19], -v[213:214]
	s_delay_alu instid0(VALU_DEP_1) | instskip(SKIP_1) | instid1(VALU_DEP_1)
	v_add_f64_e32 v[114:115], v[121:122], v[114:115]
	v_fma_f64 v[121:122], v[85:86], s[2:3], v[215:216]
	v_add_f64_e32 v[112:113], v[121:122], v[112:113]
	v_fma_f64 v[121:122], v[87:88], s[2:3], -v[217:218]
	s_delay_alu instid0(VALU_DEP_1) | instskip(SKIP_1) | instid1(VALU_DEP_2)
	v_add_f64_e32 v[114:115], v[121:122], v[114:115]
	v_fma_f64 v[121:122], v[77:78], s[20:21], v[219:220]
	v_add_f64_e32 v[114:115], v[138:139], v[114:115]
	s_delay_alu instid0(VALU_DEP_2) | instskip(SKIP_2) | instid1(VALU_DEP_2)
	v_add_f64_e32 v[112:113], v[121:122], v[112:113]
	v_fma_f64 v[121:122], v[134:135], s[2:3], v[183:184]
	v_fma_f64 v[138:139], v[105:106], s[2:3], v[160:161]
	v_add_f64_e32 v[116:117], v[121:122], v[117:118]
	v_fma_f64 v[121:122], v[136:137], s[2:3], -v[185:186]
	s_delay_alu instid0(VALU_DEP_1) | instskip(SKIP_2) | instid1(VALU_DEP_2)
	v_add_f64_e32 v[118:119], v[121:122], v[119:120]
	v_fma_f64 v[120:121], v[105:106], s[14:15], v[187:188]
	v_fma_f64 v[122:123], v[79:80], s[12:13], -v[201:202]
	v_add_f64_e32 v[116:117], v[120:121], v[116:117]
	v_fma_f64 v[120:121], v[124:125], s[14:15], -v[189:190]
	s_delay_alu instid0(VALU_DEP_1) | instskip(SKIP_1) | instid1(VALU_DEP_1)
	v_add_f64_e32 v[118:119], v[120:121], v[118:119]
	v_fma_f64 v[120:121], v[72:73], s[30:31], v[191:192]
	v_add_f64_e32 v[116:117], v[120:121], v[116:117]
	v_fma_f64 v[120:121], v[74:75], s[30:31], -v[193:194]
	s_delay_alu instid0(VALU_DEP_1) | instskip(SKIP_1) | instid1(VALU_DEP_1)
	v_add_f64_e32 v[118:119], v[120:121], v[118:119]
	v_fma_f64 v[120:121], v[85:86], s[20:21], v[195:196]
	v_add_f64_e32 v[116:117], v[120:121], v[116:117]
	v_fma_f64 v[120:121], v[87:88], s[20:21], -v[197:198]
	s_delay_alu instid0(VALU_DEP_1) | instskip(SKIP_1) | instid1(VALU_DEP_2)
	v_add_f64_e32 v[118:119], v[120:121], v[118:119]
	v_fma_f64 v[120:121], v[77:78], s[12:13], v[199:200]
	v_add_f64_e32 v[118:119], v[122:123], v[118:119]
	s_delay_alu instid0(VALU_DEP_2) | instskip(SKIP_2) | instid1(VALU_DEP_2)
	v_add_f64_e32 v[116:117], v[120:121], v[116:117]
	v_fma_f64 v[120:121], v[134:135], s[14:15], v[148:149]
	v_fma_f64 v[122:123], v[136:137], s[14:15], -v[150:151]
	v_add_f64_e32 v[120:121], v[120:121], v[142:143]
	s_delay_alu instid0(VALU_DEP_2) | instskip(SKIP_1) | instid1(VALU_DEP_3)
	v_add_f64_e32 v[122:123], v[122:123], v[158:159]
	v_fma_f64 v[142:143], v[79:80], s[30:31], -v[181:182]
	v_add_f64_e32 v[120:121], v[138:139], v[120:121]
	v_fma_f64 v[138:139], v[124:125], s[2:3], -v[162:163]
	s_delay_alu instid0(VALU_DEP_1) | instskip(SKIP_1) | instid1(VALU_DEP_1)
	v_add_f64_e32 v[122:123], v[138:139], v[122:123]
	v_fma_f64 v[138:139], v[72:73], s[12:13], v[164:165]
                                        ; implicit-def: $vgpr164_vgpr165
	v_add_f64_e32 v[120:121], v[138:139], v[120:121]
	v_fma_f64 v[138:139], v[74:75], s[12:13], -v[166:167]
	s_delay_alu instid0(VALU_DEP_1) | instskip(SKIP_1) | instid1(VALU_DEP_1)
	v_add_f64_e32 v[122:123], v[138:139], v[122:123]
	v_fma_f64 v[138:139], v[85:86], s[18:19], v[168:169]
                                        ; implicit-def: $vgpr168_vgpr169
	v_add_f64_e32 v[120:121], v[138:139], v[120:121]
	v_fma_f64 v[138:139], v[87:88], s[18:19], -v[170:171]
	s_delay_alu instid0(VALU_DEP_1) | instskip(SKIP_1) | instid1(VALU_DEP_2)
	v_add_f64_e32 v[122:123], v[138:139], v[122:123]
	v_fma_f64 v[138:139], v[77:78], s[30:31], v[173:174]
	v_add_f64_e32 v[122:123], v[142:143], v[122:123]
	s_delay_alu instid0(VALU_DEP_2) | instskip(SKIP_4) | instid1(VALU_DEP_4)
	v_add_f64_e32 v[120:121], v[138:139], v[120:121]
	v_fma_f64 v[138:139], v[134:135], s[20:21], -v[132:133]
	v_fma_f64 v[142:143], v[136:137], s[20:21], v[130:131]
	v_fma_f64 v[132:133], v[134:135], s[20:21], v[132:133]
	v_fma_f64 v[130:131], v[136:137], s[20:21], -v[130:131]
	v_add_f64_e32 v[138:139], v[138:139], v[152:153]
	s_delay_alu instid0(VALU_DEP_4) | instskip(SKIP_3) | instid1(VALU_DEP_3)
	v_add_f64_e32 v[140:141], v[142:143], v[140:141]
	v_fma_f64 v[142:143], v[105:106], s[18:19], -v[128:129]
	v_fma_f64 v[105:106], v[105:106], s[18:19], v[128:129]
	v_add_f64_e32 v[128:129], v[130:131], v[156:157]
	v_add_f64_e32 v[138:139], v[142:143], v[138:139]
	v_fma_f64 v[142:143], v[124:125], s[18:19], v[126:127]
	v_fma_f64 v[124:125], v[124:125], s[18:19], -v[126:127]
	v_add_f64_e32 v[126:127], v[132:133], v[154:155]
	s_delay_alu instid0(VALU_DEP_3) | instskip(SKIP_1) | instid1(VALU_DEP_3)
	v_add_f64_e32 v[140:141], v[142:143], v[140:141]
	v_mul_f64_e32 v[142:143], s[24:25], v[70:71]
	v_add_f64_e32 v[105:106], v[105:106], v[126:127]
	v_add_f64_e32 v[124:125], v[124:125], v[128:129]
	s_delay_alu instid0(VALU_DEP_3) | instskip(SKIP_1) | instid1(VALU_DEP_2)
	v_fma_f64 v[70:71], v[72:73], s[14:15], -v[142:143]
	v_fma_f64 v[72:73], v[72:73], s[14:15], v[142:143]
	v_add_f64_e32 v[70:71], v[70:71], v[138:139]
	v_mul_f64_e32 v[138:139], s[24:25], v[68:69]
	s_delay_alu instid0(VALU_DEP_3) | instskip(NEXT) | instid1(VALU_DEP_2)
	v_add_f64_e32 v[72:73], v[72:73], v[105:106]
	v_fma_f64 v[68:69], v[74:75], s[14:15], v[138:139]
	v_fma_f64 v[74:75], v[74:75], s[14:15], -v[138:139]
	s_delay_alu instid0(VALU_DEP_2) | instskip(SKIP_2) | instid1(VALU_DEP_4)
	v_add_f64_e32 v[68:69], v[68:69], v[140:141]
	v_fma_f64 v[140:141], v[85:86], s[12:13], -v[91:92]
	v_fma_f64 v[85:86], v[85:86], s[12:13], v[91:92]
	v_add_f64_e32 v[74:75], v[74:75], v[124:125]
	s_delay_alu instid0(VALU_DEP_3) | instskip(SKIP_3) | instid1(VALU_DEP_3)
	v_add_f64_e32 v[70:71], v[140:141], v[70:71]
	v_fma_f64 v[140:141], v[87:88], s[12:13], v[89:90]
	v_fma_f64 v[87:88], v[87:88], s[12:13], -v[89:90]
	v_add_f64_e32 v[72:73], v[85:86], v[72:73]
	v_add_f64_e32 v[140:141], v[140:141], v[68:69]
	v_fma_f64 v[68:69], v[77:78], s[2:3], -v[83:84]
	v_fma_f64 v[77:78], v[77:78], s[2:3], v[83:84]
	v_add_f64_e32 v[74:75], v[87:88], v[74:75]
	s_delay_alu instid0(VALU_DEP_3)
	v_add_f64_e32 v[68:69], v[68:69], v[70:71]
	v_fma_f64 v[70:71], v[79:80], s[2:3], v[81:82]
	v_fma_f64 v[79:80], v[79:80], s[2:3], -v[81:82]
	v_add_f64_e32 v[128:129], v[77:78], v[72:73]
	s_load_b64 s[2:3], s[0:1], 0x38
	v_add_co_u32 v173, s0, s8, v178
	s_wait_alu 0xf1ff
	v_add_co_ci_u32_e64 v174, null, s9, 0, s0
	v_add_f64_e32 v[70:71], v[70:71], v[140:141]
	v_add_f64_e32 v[130:131], v[79:80], v[74:75]
	ds_store_b128 v179, v[52:55] offset:32
	ds_store_b128 v179, v[60:63] offset:48
	;; [unrolled: 1-line block ×7, first 2 shown]
	ds_store_b128 v179, v[56:59]
	scratch_store_b32 off, v7, off          ; 4-byte Folded Spill
	ds_store_b128 v179, v[108:111] offset:128
	ds_store_b128 v179, v[112:115] offset:144
	;; [unrolled: 1-line block ×5, first 2 shown]
	global_wb scope:SCOPE_SE
	s_wait_storecnt_dscnt 0x0
	s_wait_kmcnt 0x0
	s_barrier_signal -1
	s_barrier_wait -1
	global_inv scope:SCOPE_SE
	ds_load_b128 v[124:127], v40
	ds_load_b128 v[160:163], v176 offset:208
	ds_load_b128 v[148:151], v176 offset:416
	;; [unrolled: 1-line block ×7, first 2 shown]
	v_or_b32_e32 v75, 8, v7
                                        ; implicit-def: $vgpr140_vgpr141
	s_delay_alu instid0(VALU_DEP_1)
	v_cmp_gt_u64_e32 vcc_lo, 13, v[75:76]
	s_and_saveexec_b32 s0, vcc_lo
	s_cbranch_execz .LBB0_3
; %bb.2:
	ds_load_b128 v[108:111], v176 offset:128
	ds_load_b128 v[112:115], v176 offset:336
	;; [unrolled: 1-line block ×8, first 2 shown]
.LBB0_3:
	s_wait_alu 0xfffe
	s_or_b32 exec_lo, exec_lo, s0
	scratch_load_b32 v0, off, off           ; 4-byte Folded Reload
	s_wait_loadcnt 0x0
	v_mad_co_u64_u32 v[52:53], null, 0x70, v0, s[10:11]
	v_add_nc_u32_e32 v0, -5, v0
	s_clause 0x6
	global_load_b128 v[88:91], v[52:53], off
	global_load_b128 v[84:87], v[52:53], off offset:16
	global_load_b128 v[80:83], v[52:53], off offset:48
	;; [unrolled: 1-line block ×6, first 2 shown]
	v_cndmask_b32_e32 v0, v0, v75, vcc_lo
	s_delay_alu instid0(VALU_DEP_1) | instskip(SKIP_1) | instid1(VALU_DEP_2)
	v_mul_i32_i24_e32 v1, 0x70, v0
	v_mul_hi_i32_i24_e32 v0, 0x70, v0
	v_add_co_u32 v76, s0, s10, v1
	s_wait_alu 0xf1ff
	s_delay_alu instid0(VALU_DEP_2)
	v_add_co_ci_u32_e64 v77, s0, s11, v0, s0
	s_clause 0x6
	global_load_b128 v[8:11], v[76:77], off
	global_load_b128 v[4:7], v[76:77], off offset:16
	global_load_b128 v[0:3], v[76:77], off offset:48
	global_load_b128 v[64:67], v[76:77], off offset:32
	global_load_b128 v[68:71], v[76:77], off offset:80
	global_load_b128 v[72:75], v[76:77], off offset:64
	global_load_b128 v[76:79], v[76:77], off offset:96
	s_mov_b32 s0, 0x667f3bcd
	s_mov_b32 s1, 0xbfe6a09e
	;; [unrolled: 1-line block ×3, first 2 shown]
	s_wait_alu 0xfffe
	s_mov_b32 s10, s0
	s_wait_loadcnt_dscnt 0xd06
	v_mul_f64_e32 v[181:182], v[162:163], v[90:91]
	v_mul_f64_e32 v[183:184], v[160:161], v[90:91]
	s_wait_loadcnt_dscnt 0xc05
	v_mul_f64_e32 v[185:186], v[150:151], v[86:87]
	v_mul_f64_e32 v[187:188], v[148:149], v[86:87]
	s_wait_loadcnt_dscnt 0xb03
	v_mul_f64_e32 v[189:190], v[154:155], v[82:83]
	v_mul_f64_e32 v[191:192], v[152:153], v[82:83]
	s_wait_loadcnt_dscnt 0xa01
	v_mul_f64_e32 v[193:194], v[158:159], v[94:95]
	v_mul_f64_e32 v[195:196], v[156:157], v[94:95]
	s_wait_loadcnt 0x9
	v_mul_f64_e32 v[197:198], v[146:147], v[102:103]
	v_mul_f64_e32 v[199:200], v[144:145], v[102:103]
	s_wait_loadcnt 0x8
	v_mul_f64_e32 v[201:202], v[134:135], v[98:99]
	v_mul_f64_e32 v[203:204], v[132:133], v[98:99]
	s_wait_loadcnt_dscnt 0x700
	v_mul_f64_e32 v[205:206], v[138:139], v[106:107]
	v_mul_f64_e32 v[207:208], v[136:137], v[106:107]
	s_wait_loadcnt 0x6
	v_mul_f64_e32 v[209:210], v[114:115], v[10:11]
	v_mul_f64_e32 v[211:212], v[112:113], v[10:11]
	s_wait_loadcnt 0x5
	;; [unrolled: 3-line block ×3, first 2 shown]
	v_mul_f64_e32 v[217:218], v[130:131], v[2:3]
	s_clause 0x2
	scratch_store_b128 off, v[8:11], off offset:252
	scratch_store_b128 off, v[4:7], off offset:236
	;; [unrolled: 1-line block ×3, first 2 shown]
	v_fma_f64 v[160:161], v[160:161], v[88:89], -v[181:182]
	v_fma_f64 v[162:163], v[162:163], v[88:89], v[183:184]
	v_fma_f64 v[148:149], v[148:149], v[84:85], -v[185:186]
	v_fma_f64 v[150:151], v[150:151], v[84:85], v[187:188]
	;; [unrolled: 2-line block ×7, first 2 shown]
	s_wait_loadcnt 0x3
	v_mul_f64_e32 v[181:182], v[122:123], v[66:67]
	v_mul_f64_e32 v[183:184], v[120:121], v[66:67]
	;; [unrolled: 1-line block ×3, first 2 shown]
	s_wait_loadcnt 0x2
	v_mul_f64_e32 v[187:188], v[166:167], v[70:71]
	v_mul_f64_e32 v[189:190], v[164:165], v[70:71]
	s_wait_loadcnt 0x1
	v_mul_f64_e32 v[191:192], v[142:143], v[74:75]
	v_mul_f64_e32 v[193:194], v[140:141], v[74:75]
	;; [unrolled: 3-line block ×3, first 2 shown]
	v_fma_f64 v[112:113], v[112:113], v[8:9], -v[209:210]
	v_fma_f64 v[114:115], v[114:115], v[8:9], v[211:212]
	v_fma_f64 v[128:129], v[128:129], v[0:1], -v[217:218]
	v_fma_f64 v[116:117], v[116:117], v[4:5], -v[213:214]
	v_fma_f64 v[118:119], v[118:119], v[4:5], v[215:216]
	v_add_f64_e64 v[152:153], v[124:125], -v[152:153]
	v_add_f64_e64 v[154:155], v[126:127], -v[154:155]
	v_add_f64_e64 v[156:157], v[148:149], -v[156:157]
	v_add_f64_e64 v[158:159], v[150:151], -v[158:159]
	v_add_f64_e64 v[144:145], v[160:161], -v[144:145]
	v_add_f64_e64 v[146:147], v[162:163], -v[146:147]
	v_add_f64_e64 v[136:137], v[132:133], -v[136:137]
	v_add_f64_e64 v[138:139], v[134:135], -v[138:139]
	v_fma_f64 v[181:182], v[120:121], v[64:65], -v[181:182]
	v_fma_f64 v[183:184], v[122:123], v[64:65], v[183:184]
	v_fma_f64 v[120:121], v[130:131], v[0:1], v[185:186]
	v_fma_f64 v[122:123], v[164:165], v[68:69], -v[187:188]
	v_fma_f64 v[130:131], v[166:167], v[68:69], v[189:190]
	v_fma_f64 v[140:141], v[140:141], v[72:73], -v[191:192]
	v_fma_f64 v[142:143], v[142:143], v[72:73], v[193:194]
	v_fma_f64 v[164:165], v[170:171], v[76:77], v[195:196]
	v_fma_f64 v[166:167], v[168:169], v[76:77], -v[197:198]
	v_add_f64_e64 v[128:129], v[108:109], -v[128:129]
	v_fma_f64 v[168:169], v[124:125], 2.0, -v[152:153]
	v_fma_f64 v[170:171], v[126:127], 2.0, -v[154:155]
	;; [unrolled: 1-line block ×6, first 2 shown]
	v_add_f64_e64 v[185:186], v[152:153], -v[158:159]
	v_add_f64_e32 v[187:188], v[154:155], v[156:157]
	v_fma_f64 v[132:133], v[132:133], 2.0, -v[136:137]
	v_fma_f64 v[134:135], v[134:135], 2.0, -v[138:139]
	v_add_f64_e64 v[158:159], v[144:145], -v[138:139]
	v_add_f64_e32 v[156:157], v[146:147], v[136:137]
	v_add_f64_e64 v[136:137], v[110:111], -v[120:121]
	v_add_f64_e64 v[138:139], v[116:117], -v[122:123]
	;; [unrolled: 1-line block ×9, first 2 shown]
	v_fma_f64 v[124:125], v[108:109], 2.0, -v[128:129]
	v_fma_f64 v[191:192], v[152:153], 2.0, -v[185:186]
	v_fma_f64 v[193:194], v[154:155], 2.0, -v[187:188]
	v_add_f64_e64 v[152:153], v[148:149], -v[132:133]
	v_add_f64_e64 v[154:155], v[150:151], -v[134:135]
	v_fma_f64 v[195:196], v[144:145], 2.0, -v[158:159]
	v_fma_f64 v[197:198], v[146:147], 2.0, -v[156:157]
	;; [unrolled: 1-line block ×3, first 2 shown]
	v_add_f64_e32 v[122:123], v[136:137], v[138:139]
	v_add_f64_e64 v[120:121], v[128:129], -v[160:161]
	v_fma_f64 v[108:109], v[116:117], 2.0, -v[138:139]
	v_fma_f64 v[110:111], v[118:119], 2.0, -v[160:161]
	v_add_f64_e64 v[199:200], v[140:141], -v[162:163]
	v_add_f64_e32 v[201:202], v[142:143], v[164:165]
	v_fma_f64 v[126:127], v[112:113], 2.0, -v[140:141]
	v_fma_f64 v[134:135], v[114:115], 2.0, -v[142:143]
	;; [unrolled: 1-line block ×6, first 2 shown]
	s_wait_alu 0xfffe
	v_fma_f64 v[168:169], v[158:159], s[10:11], v[185:186]
	v_fma_f64 v[170:171], v[156:157], s[10:11], v[187:188]
	v_fma_f64 v[118:119], v[148:149], 2.0, -v[152:153]
	v_fma_f64 v[150:151], v[150:151], 2.0, -v[154:155]
	v_fma_f64 v[160:161], v[195:196], s[0:1], v[191:192]
	v_fma_f64 v[162:163], v[197:198], s[0:1], v[193:194]
	v_add_f64_e64 v[144:145], v[166:167], -v[154:155]
	v_fma_f64 v[132:133], v[136:137], 2.0, -v[122:123]
	v_fma_f64 v[128:129], v[128:129], 2.0, -v[120:121]
	v_add_f64_e64 v[136:137], v[124:125], -v[108:109]
	v_add_f64_e64 v[138:139], v[130:131], -v[110:111]
	v_fma_f64 v[203:204], v[140:141], 2.0, -v[199:200]
	v_fma_f64 v[205:206], v[142:143], 2.0, -v[201:202]
	v_add_f64_e32 v[146:147], v[189:190], v[152:153]
	v_add_f64_e64 v[140:141], v[134:135], -v[112:113]
	v_add_f64_e64 v[142:143], v[126:127], -v[164:165]
	v_fma_f64 v[112:113], v[199:200], s[10:11], v[120:121]
	v_fma_f64 v[156:157], v[156:157], s[0:1], v[168:169]
	;; [unrolled: 1-line block ×3, first 2 shown]
	v_add_f64_e64 v[148:149], v[114:115], -v[118:119]
	v_add_f64_e64 v[150:151], v[116:117], -v[150:151]
	v_fma_f64 v[152:153], v[197:198], s[0:1], v[160:161]
	v_fma_f64 v[154:155], v[195:196], s[10:11], v[162:163]
	;; [unrolled: 1-line block ×3, first 2 shown]
	v_fma_f64 v[160:161], v[166:167], 2.0, -v[144:145]
	v_fma_f64 v[195:196], v[203:204], s[0:1], v[128:129]
	v_fma_f64 v[197:198], v[205:206], s[0:1], v[132:133]
	v_fma_f64 v[162:163], v[189:190], 2.0, -v[146:147]
	v_add_f64_e64 v[108:109], v[136:137], -v[140:141]
	v_add_f64_e32 v[110:111], v[138:139], v[142:143]
	v_fma_f64 v[181:182], v[185:186], 2.0, -v[156:157]
	v_fma_f64 v[183:184], v[187:188], 2.0, -v[158:159]
	;; [unrolled: 1-line block ×4, first 2 shown]
	v_fma_f64 v[116:117], v[201:202], s[0:1], v[112:113]
	v_fma_f64 v[168:169], v[191:192], 2.0, -v[152:153]
	v_fma_f64 v[118:119], v[199:200], s[10:11], v[118:119]
	v_fma_f64 v[170:171], v[193:194], 2.0, -v[154:155]
	ds_store_b128 v40, v[164:167]
	ds_store_b128 v176, v[168:171] offset:208
	ds_store_b128 v176, v[160:163] offset:416
	;; [unrolled: 1-line block ×7, first 2 shown]
	v_fma_f64 v[112:113], v[205:206], s[0:1], v[195:196]
	v_fma_f64 v[114:115], v[203:204], s[10:11], v[197:198]
	s_and_saveexec_b32 s0, vcc_lo
	s_cbranch_execz .LBB0_5
; %bb.4:
	v_fma_f64 v[144:145], v[130:131], 2.0, -v[138:139]
	v_fma_f64 v[130:131], v[134:135], 2.0, -v[140:141]
	;; [unrolled: 1-line block ×9, first 2 shown]
	v_add_f64_e64 v[126:127], v[144:145], -v[130:131]
	v_fma_f64 v[130:131], v[132:133], 2.0, -v[114:115]
	v_add_f64_e64 v[124:125], v[140:141], -v[124:125]
	s_delay_alu instid0(VALU_DEP_3) | instskip(NEXT) | instid1(VALU_DEP_2)
	v_fma_f64 v[134:135], v[144:145], 2.0, -v[126:127]
	v_fma_f64 v[132:133], v[140:141], 2.0, -v[124:125]
	ds_store_b128 v176, v[136:139] offset:544
	ds_store_b128 v176, v[120:123] offset:752
	;; [unrolled: 1-line block ×8, first 2 shown]
.LBB0_5:
	s_wait_alu 0xfffe
	s_or_b32 exec_lo, exec_lo, s0
	global_wb scope:SCOPE_SE
	s_wait_storecnt_dscnt 0x0
	s_barrier_signal -1
	s_barrier_wait -1
	global_inv scope:SCOPE_SE
	global_load_b128 v[120:123], v[173:174], off offset:1664
	s_add_nc_u64 s[0:1], s[8:9], 0x680
	s_clause 0x3
	global_load_b128 v[124:127], v178, s[0:1] offset:128
	global_load_b128 v[128:131], v178, s[0:1] offset:256
	;; [unrolled: 1-line block ×4, first 2 shown]
	ds_load_b128 v[140:143], v40
	v_lshl_add_u32 v61, v180, 4, v178
	s_mov_b32 s42, 0x4267c47c
	s_mov_b32 s24, 0x42a4c3d2
	;; [unrolled: 1-line block ×27, first 2 shown]
	s_wait_alu 0xfffe
	s_mov_b32 s36, s24
	s_mov_b32 s34, s40
	;; [unrolled: 1-line block ×7, first 2 shown]
	v_mov_b32_e32 v60, v40
	s_wait_loadcnt_dscnt 0x400
	v_mul_f64_e32 v[144:145], v[142:143], v[122:123]
	v_mul_f64_e32 v[122:123], v[140:141], v[122:123]
	s_delay_alu instid0(VALU_DEP_2) | instskip(NEXT) | instid1(VALU_DEP_2)
	v_fma_f64 v[140:141], v[140:141], v[120:121], -v[144:145]
	v_fma_f64 v[142:143], v[142:143], v[120:121], v[122:123]
	ds_store_b128 v40, v[140:143]
	ds_load_b128 v[120:123], v61 offset:128
	ds_load_b128 v[140:143], v176 offset:1536
	;; [unrolled: 1-line block ×4, first 2 shown]
	s_wait_loadcnt_dscnt 0x303
	v_mul_f64_e32 v[152:153], v[122:123], v[126:127]
	v_mul_f64_e32 v[126:127], v[120:121], v[126:127]
	s_delay_alu instid0(VALU_DEP_2) | instskip(NEXT) | instid1(VALU_DEP_2)
	v_fma_f64 v[120:121], v[120:121], v[124:125], -v[152:153]
	v_fma_f64 v[122:123], v[122:123], v[124:125], v[126:127]
	s_wait_loadcnt_dscnt 0x201
	v_mul_f64_e32 v[124:125], v[146:147], v[130:131]
	v_mul_f64_e32 v[126:127], v[144:145], v[130:131]
	s_wait_loadcnt_dscnt 0x100
	v_mul_f64_e32 v[152:153], v[150:151], v[134:135]
	v_mul_f64_e32 v[134:135], v[148:149], v[134:135]
	s_delay_alu instid0(VALU_DEP_4) | instskip(NEXT) | instid1(VALU_DEP_4)
	v_fma_f64 v[124:125], v[144:145], v[128:129], -v[124:125]
	v_fma_f64 v[126:127], v[146:147], v[128:129], v[126:127]
	ds_load_b128 v[144:147], v176 offset:512
	global_load_b128 v[128:131], v178, s[0:1] offset:640
	v_fma_f64 v[148:149], v[148:149], v[132:133], -v[152:153]
	v_fma_f64 v[150:151], v[150:151], v[132:133], v[134:135]
	ds_load_b128 v[132:135], v176 offset:640
	s_wait_loadcnt_dscnt 0x101
	v_mul_f64_e32 v[152:153], v[146:147], v[138:139]
	v_mul_f64_e32 v[138:139], v[144:145], v[138:139]
	s_delay_alu instid0(VALU_DEP_2) | instskip(NEXT) | instid1(VALU_DEP_2)
	v_fma_f64 v[144:145], v[144:145], v[136:137], -v[152:153]
	v_fma_f64 v[146:147], v[146:147], v[136:137], v[138:139]
	global_load_b128 v[136:139], v178, s[0:1] offset:768
	s_wait_loadcnt_dscnt 0x100
	v_mul_f64_e32 v[152:153], v[134:135], v[130:131]
	v_mul_f64_e32 v[154:155], v[132:133], v[130:131]
	s_delay_alu instid0(VALU_DEP_2) | instskip(NEXT) | instid1(VALU_DEP_2)
	v_fma_f64 v[130:131], v[132:133], v[128:129], -v[152:153]
	v_fma_f64 v[132:133], v[134:135], v[128:129], v[154:155]
	ds_load_b128 v[152:155], v176 offset:768
	ds_load_b128 v[156:159], v176 offset:896
	s_wait_loadcnt_dscnt 0x1
	v_mul_f64_e32 v[128:129], v[154:155], v[138:139]
	v_mul_f64_e32 v[138:139], v[152:153], v[138:139]
	s_delay_alu instid0(VALU_DEP_2) | instskip(NEXT) | instid1(VALU_DEP_2)
	v_fma_f64 v[134:135], v[152:153], v[136:137], -v[128:129]
	v_fma_f64 v[136:137], v[154:155], v[136:137], v[138:139]
	s_clause 0x1
	global_load_b128 v[152:155], v178, s[0:1] offset:896
	global_load_b128 v[160:163], v178, s[0:1] offset:1024
	ds_load_b128 v[164:167], v176 offset:1024
	ds_load_b128 v[168:171], v176 offset:1152
	s_wait_loadcnt_dscnt 0x102
	v_mul_f64_e32 v[128:129], v[158:159], v[154:155]
	v_mul_f64_e32 v[138:139], v[156:157], v[154:155]
	s_delay_alu instid0(VALU_DEP_2) | instskip(SKIP_2) | instid1(VALU_DEP_3)
	v_fma_f64 v[154:155], v[156:157], v[152:153], -v[128:129]
	s_wait_loadcnt_dscnt 0x1
	v_mul_f64_e32 v[128:129], v[166:167], v[162:163]
	v_fma_f64 v[156:157], v[158:159], v[152:153], v[138:139]
	v_mul_f64_e32 v[138:139], v[164:165], v[162:163]
	s_delay_alu instid0(VALU_DEP_3)
	v_fma_f64 v[158:159], v[164:165], v[160:161], -v[128:129]
	s_clause 0x1
	global_load_b128 v[162:165], v178, s[0:1] offset:1152
	global_load_b128 v[180:183], v178, s[0:1] offset:1280
	v_fma_f64 v[160:161], v[166:167], v[160:161], v[138:139]
	s_wait_loadcnt_dscnt 0x100
	v_mul_f64_e32 v[128:129], v[170:171], v[164:165]
	v_mul_f64_e32 v[138:139], v[168:169], v[164:165]
	s_delay_alu instid0(VALU_DEP_2) | instskip(NEXT) | instid1(VALU_DEP_2)
	v_fma_f64 v[164:165], v[168:169], v[162:163], -v[128:129]
	v_fma_f64 v[166:167], v[170:171], v[162:163], v[138:139]
	ds_load_b128 v[168:171], v176 offset:1280
	ds_load_b128 v[184:187], v176 offset:1408
	s_wait_loadcnt_dscnt 0x1
	v_mul_f64_e32 v[128:129], v[170:171], v[182:183]
	v_mul_f64_e32 v[138:139], v[168:169], v[182:183]
	s_delay_alu instid0(VALU_DEP_2) | instskip(NEXT) | instid1(VALU_DEP_2)
	v_fma_f64 v[168:169], v[168:169], v[180:181], -v[128:129]
	v_fma_f64 v[170:171], v[170:171], v[180:181], v[138:139]
	s_clause 0x1
	global_load_b128 v[180:183], v178, s[0:1] offset:1408
	global_load_b128 v[188:191], v178, s[0:1] offset:1536
	s_mov_b32 s0, 0x93053d00
	s_mov_b32 s1, 0xbfef11f4
	s_wait_loadcnt_dscnt 0x100
	v_mul_f64_e32 v[128:129], v[186:187], v[182:183]
	v_mul_f64_e32 v[138:139], v[184:185], v[182:183]
	s_wait_loadcnt 0x0
	v_mul_f64_e32 v[152:153], v[140:141], v[190:191]
	s_delay_alu instid0(VALU_DEP_3) | instskip(SKIP_1) | instid1(VALU_DEP_4)
	v_fma_f64 v[182:183], v[184:185], v[180:181], -v[128:129]
	v_mul_f64_e32 v[128:129], v[142:143], v[190:191]
	v_fma_f64 v[184:185], v[186:187], v[180:181], v[138:139]
	s_delay_alu instid0(VALU_DEP_2)
	v_fma_f64 v[138:139], v[140:141], v[188:189], -v[128:129]
	v_fma_f64 v[140:141], v[142:143], v[188:189], v[152:153]
	ds_store_b128 v176, v[124:127] offset:256
	ds_store_b128 v176, v[148:151] offset:384
	ds_store_b128 v176, v[144:147] offset:512
	ds_store_b128 v176, v[130:133] offset:640
	ds_store_b128 v176, v[134:137] offset:768
	ds_store_b128 v176, v[154:157] offset:896
	ds_store_b128 v176, v[158:161] offset:1024
	ds_store_b128 v176, v[164:167] offset:1152
	ds_store_b128 v176, v[168:171] offset:1280
	ds_store_b128 v176, v[182:185] offset:1408
	ds_store_b128 v61, v[120:123] offset:128
	ds_store_b128 v176, v[138:141] offset:1536
	global_wb scope:SCOPE_SE
	s_wait_dscnt 0x0
	s_barrier_signal -1
	s_barrier_wait -1
	global_inv scope:SCOPE_SE
	ds_load_b128 v[124:127], v61 offset:128
	ds_load_b128 v[120:123], v40
	ds_load_b128 v[128:131], v176 offset:256
	s_wait_dscnt 0x1
	v_add_f64_e32 v[132:133], v[120:121], v[124:125]
	v_add_f64_e32 v[134:135], v[122:123], v[126:127]
	s_wait_dscnt 0x0
	s_delay_alu instid0(VALU_DEP_2) | instskip(NEXT) | instid1(VALU_DEP_2)
	v_add_f64_e32 v[136:137], v[132:133], v[128:129]
	v_add_f64_e32 v[138:139], v[134:135], v[130:131]
	ds_load_b128 v[132:135], v176 offset:384
	ds_load_b128 v[152:155], v176 offset:512
	;; [unrolled: 1-line block ×6, first 2 shown]
	s_wait_dscnt 0x1
	v_add_f64_e32 v[140:141], v[142:143], v[146:147]
	v_add_f64_e32 v[136:137], v[136:137], v[132:133]
	;; [unrolled: 1-line block ×3, first 2 shown]
	s_delay_alu instid0(VALU_DEP_2) | instskip(NEXT) | instid1(VALU_DEP_2)
	v_add_f64_e32 v[136:137], v[136:137], v[152:153]
	v_add_f64_e32 v[138:139], v[138:139], v[154:155]
	s_delay_alu instid0(VALU_DEP_2) | instskip(NEXT) | instid1(VALU_DEP_2)
	v_add_f64_e32 v[136:137], v[136:137], v[156:157]
	v_add_f64_e32 v[138:139], v[138:139], v[158:159]
	s_delay_alu instid0(VALU_DEP_2) | instskip(NEXT) | instid1(VALU_DEP_2)
	v_add_f64_e32 v[150:151], v[136:137], v[142:143]
	v_add_f64_e32 v[164:165], v[138:139], v[144:145]
	v_add_f64_e32 v[136:137], v[144:145], v[148:149]
	v_add_f64_e64 v[142:143], v[142:143], -v[146:147]
	v_add_f64_e64 v[138:139], v[144:145], -v[148:149]
	s_wait_dscnt 0x0
	v_add_f64_e32 v[144:145], v[156:157], v[160:161]
	v_add_f64_e32 v[166:167], v[150:151], v[146:147]
	v_add_f64_e32 v[164:165], v[164:165], v[148:149]
	v_add_f64_e32 v[148:149], v[158:159], v[162:163]
	v_add_f64_e64 v[146:147], v[156:157], -v[160:161]
	v_add_f64_e64 v[150:151], v[158:159], -v[162:163]
	v_mul_f64_e32 v[246:247], s[18:19], v[138:139]
	s_wait_alu 0xfffe
	v_mul_f64_e32 v[248:249], s[0:1], v[136:137]
	v_mul_f64_e32 v[28:29], s[26:27], v[138:139]
	;; [unrolled: 1-line block ×3, first 2 shown]
	v_add_f64_e32 v[166:167], v[166:167], v[160:161]
	v_add_f64_e32 v[164:165], v[164:165], v[162:163]
	ds_load_b128 v[156:159], v176 offset:1152
	ds_load_b128 v[160:163], v176 offset:1280
	v_mul_f64_e32 v[244:245], s[8:9], v[148:149]
	v_mul_f64_e32 v[242:243], s[26:27], v[150:151]
	v_mul_f64_e32 v[8:9], s[12:13], v[148:149]
	v_mul_f64_e32 v[4:5], s[34:35], v[150:151]
	v_mul_f64_e32 v[24:25], s[24:25], v[150:151]
	v_fma_f64 v[30:31], v[140:141], s[8:9], v[28:29]
	v_mul_f64_e32 v[40:41], s[22:23], v[150:151]
	v_fma_f64 v[46:47], v[140:141], s[14:15], v[44:45]
	v_mul_f64_e32 v[56:57], s[16:17], v[148:149]
	s_wait_dscnt 0x1
	v_add_f64_e32 v[184:185], v[152:153], v[156:157]
	v_add_f64_e32 v[180:181], v[154:155], v[158:159]
	v_add_f64_e64 v[186:187], v[152:153], -v[156:157]
	v_add_f64_e64 v[182:183], v[154:155], -v[158:159]
	s_wait_dscnt 0x0
	v_add_f64_e32 v[188:189], v[132:133], v[160:161]
	v_add_f64_e32 v[190:191], v[134:135], v[162:163]
	v_add_f64_e64 v[192:193], v[132:133], -v[160:161]
	v_add_f64_e64 v[194:195], v[134:135], -v[162:163]
	v_add_f64_e32 v[152:153], v[166:167], v[156:157]
	v_add_f64_e32 v[154:155], v[164:165], v[158:159]
	v_fma_f64 v[10:11], v[146:147], s[40:41], v[8:9]
	v_fma_f64 v[6:7], v[144:145], s[12:13], v[4:5]
	;; [unrolled: 1-line block ×3, first 2 shown]
	v_fma_f64 v[4:5], v[144:145], s[12:13], -v[4:5]
	v_fma_f64 v[42:43], v[144:145], s[0:1], v[40:41]
	v_fma_f64 v[58:59], v[146:147], s[42:43], v[56:57]
	v_mul_f64_e32 v[240:241], s[10:11], v[180:181]
	v_mul_f64_e32 v[0:1], s[8:9], v[180:181]
	;; [unrolled: 1-line block ×16, first 2 shown]
	v_add_f64_e32 v[156:157], v[152:153], v[160:161]
	v_add_f64_e32 v[158:159], v[154:155], v[162:163]
	ds_load_b128 v[132:135], v176 offset:1408
	ds_load_b128 v[152:155], v176 offset:1536
	v_mul_f64_e32 v[182:183], s[36:37], v[182:183]
	global_wb scope:SCOPE_SE
	s_wait_dscnt 0x0
	s_barrier_signal -1
	s_barrier_wait -1
	global_inv scope:SCOPE_SE
	v_add_f64_e64 v[196:197], v[130:131], -v[134:135]
	v_add_f64_e32 v[130:131], v[130:131], v[134:135]
	v_add_f64_e32 v[198:199], v[128:129], v[132:133]
	v_add_f64_e64 v[200:201], v[128:129], -v[132:133]
	v_fma_f64 v[2:3], v[186:187], s[26:27], v[0:1]
	v_fma_f64 v[0:1], v[186:187], s[28:29], v[0:1]
	v_fma_f64 v[14:15], v[188:189], s[10:11], v[12:13]
	v_fma_f64 v[22:23], v[184:185], s[16:17], v[20:21]
	v_fma_f64 v[18:19], v[192:193], s[20:21], v[16:17]
	v_fma_f64 v[34:35], v[188:189], s[16:17], v[32:33]
	v_fma_f64 v[38:39], v[184:185], s[12:13], v[36:37]
	v_fma_f64 v[50:51], v[192:193], s[36:37], v[48:49]
	v_fma_f64 v[54:55], v[186:187], s[18:19], v[52:53]
	v_fma_f64 v[48:49], v[192:193], s[24:25], v[48:49]
	v_add_f64_e32 v[128:129], v[156:157], v[132:133]
	v_add_f64_e32 v[132:133], v[158:159], v[134:135]
	v_add_f64_e64 v[134:135], v[126:127], -v[154:155]
	v_add_f64_e32 v[126:127], v[126:127], v[154:155]
	v_add_f64_e32 v[156:157], v[124:125], v[152:153]
	v_add_f64_e64 v[124:125], v[124:125], -v[152:153]
	v_fma_f64 v[32:33], v[188:189], s[16:17], -v[32:33]
	v_fma_f64 v[12:13], v[188:189], s[10:11], -v[12:13]
	v_mul_f64_e32 v[230:231], s[24:25], v[196:197]
	v_mul_f64_e32 v[232:233], s[14:15], v[130:131]
	;; [unrolled: 1-line block ×4, first 2 shown]
	v_add_f64_e32 v[152:153], v[128:129], v[152:153]
	v_add_f64_e32 v[154:155], v[132:133], v[154:155]
	v_mul_f64_e32 v[128:129], s[42:43], v[134:135]
	v_mul_f64_e32 v[132:133], s[24:25], v[134:135]
	;; [unrolled: 1-line block ×10, first 2 shown]
	v_fma_f64 v[164:165], v[156:157], s[16:17], v[128:129]
	v_fma_f64 v[128:129], v[156:157], s[16:17], -v[128:129]
	v_fma_f64 v[166:167], v[156:157], s[14:15], v[132:133]
	v_fma_f64 v[132:133], v[156:157], s[14:15], -v[132:133]
	;; [unrolled: 2-line block ×6, first 2 shown]
	v_mul_f64_e32 v[156:157], s[16:17], v[126:127]
	v_mul_f64_e32 v[126:127], s[0:1], v[126:127]
	v_fma_f64 v[216:217], v[124:125], s[36:37], v[206:207]
	v_fma_f64 v[218:219], v[124:125], s[34:35], v[208:209]
	;; [unrolled: 1-line block ×8, first 2 shown]
	v_add_f64_e32 v[226:227], v[120:121], v[164:165]
	v_add_f64_e32 v[202:203], v[120:121], v[202:203]
	;; [unrolled: 1-line block ×5, first 2 shown]
	v_fma_f64 v[214:215], v[124:125], s[38:39], v[156:157]
	v_fma_f64 v[156:157], v[124:125], s[42:43], v[156:157]
	;; [unrolled: 1-line block ×4, first 2 shown]
	v_add_f64_e32 v[126:127], v[120:121], v[128:129]
	v_add_f64_e32 v[164:165], v[122:123], v[216:217]
	;; [unrolled: 1-line block ×17, first 2 shown]
	v_fma_f64 v[120:121], v[198:199], s[14:15], -v[230:231]
	v_add_f64_e32 v[224:225], v[122:123], v[224:225]
	v_add_f64_e32 v[124:125], v[122:123], v[124:125]
	v_fma_f64 v[122:123], v[200:201], s[24:25], v[232:233]
	s_delay_alu instid0(VALU_DEP_4) | instskip(SKIP_1) | instid1(VALU_DEP_3)
	v_add_f64_e32 v[120:121], v[120:121], v[126:127]
	v_fma_f64 v[126:127], v[188:189], s[12:13], -v[234:235]
	v_add_f64_e32 v[122:123], v[122:123], v[128:129]
	v_fma_f64 v[128:129], v[200:201], s[30:31], v[252:253]
	s_delay_alu instid0(VALU_DEP_3) | instskip(SKIP_1) | instid1(VALU_DEP_3)
	v_add_f64_e32 v[120:121], v[126:127], v[120:121]
	v_fma_f64 v[126:127], v[192:193], s[40:41], v[236:237]
	v_add_f64_e32 v[128:129], v[128:129], v[164:165]
	s_delay_alu instid0(VALU_DEP_2) | instskip(SKIP_1) | instid1(VALU_DEP_1)
	v_add_f64_e32 v[122:123], v[126:127], v[122:123]
	v_fma_f64 v[126:127], v[184:185], s[10:11], -v[238:239]
	v_add_f64_e32 v[120:121], v[126:127], v[120:121]
	v_fma_f64 v[126:127], v[186:187], s[20:21], v[240:241]
	s_delay_alu instid0(VALU_DEP_1) | instskip(SKIP_1) | instid1(VALU_DEP_1)
	v_add_f64_e32 v[122:123], v[126:127], v[122:123]
	v_fma_f64 v[126:127], v[144:145], s[8:9], -v[242:243]
	v_add_f64_e32 v[120:121], v[126:127], v[120:121]
	v_fma_f64 v[126:127], v[146:147], s[26:27], v[244:245]
	s_delay_alu instid0(VALU_DEP_1) | instskip(SKIP_1) | instid1(VALU_DEP_1)
	;; [unrolled: 5-line block ×3, first 2 shown]
	v_add_f64_e32 v[122:123], v[126:127], v[122:123]
	v_fma_f64 v[126:127], v[198:199], s[10:11], v[250:251]
	v_add_f64_e32 v[126:127], v[126:127], v[156:157]
	v_fma_f64 v[156:157], v[188:189], s[0:1], v[254:255]
	s_delay_alu instid0(VALU_DEP_1) | instskip(SKIP_1) | instid1(VALU_DEP_1)
	v_add_f64_e32 v[126:127], v[156:157], v[126:127]
	v_fma_f64 v[156:157], v[192:193], s[22:23], v[174:175]
	v_add_f64_e32 v[128:129], v[156:157], v[128:129]
	v_fma_f64 v[156:157], v[184:185], s[8:9], v[177:178]
	s_delay_alu instid0(VALU_DEP_2) | instskip(NEXT) | instid1(VALU_DEP_2)
	v_add_f64_e32 v[2:3], v[2:3], v[128:129]
	v_add_f64_e32 v[126:127], v[156:157], v[126:127]
	s_delay_alu instid0(VALU_DEP_2) | instskip(SKIP_1) | instid1(VALU_DEP_3)
	v_add_f64_e32 v[2:3], v[10:11], v[2:3]
	v_mul_f64_e32 v[10:11], s[38:39], v[138:139]
	v_add_f64_e32 v[6:7], v[6:7], v[126:127]
	s_delay_alu instid0(VALU_DEP_2) | instskip(NEXT) | instid1(VALU_DEP_1)
	v_fma_f64 v[126:127], v[140:141], s[16:17], v[10:11]
	v_add_f64_e32 v[156:157], v[126:127], v[6:7]
	v_mul_f64_e32 v[6:7], s[16:17], v[136:137]
	s_delay_alu instid0(VALU_DEP_1) | instskip(SKIP_1) | instid1(VALU_DEP_2)
	v_fma_f64 v[126:127], v[142:143], s[42:43], v[6:7]
	v_fma_f64 v[6:7], v[142:143], s[38:39], v[6:7]
	v_add_f64_e32 v[158:159], v[126:127], v[2:3]
	v_mul_f64_e32 v[2:3], s[18:19], v[196:197]
	s_delay_alu instid0(VALU_DEP_1) | instskip(SKIP_1) | instid1(VALU_DEP_2)
	v_fma_f64 v[126:127], v[198:199], s[0:1], v[2:3]
	v_fma_f64 v[2:3], v[198:199], s[0:1], -v[2:3]
	v_add_f64_e32 v[126:127], v[126:127], v[132:133]
	v_mul_f64_e32 v[132:133], s[0:1], v[130:131]
	s_delay_alu instid0(VALU_DEP_3) | instskip(NEXT) | instid1(VALU_DEP_3)
	v_add_f64_e32 v[2:3], v[2:3], v[218:219]
	v_add_f64_e32 v[14:15], v[14:15], v[126:127]
	s_delay_alu instid0(VALU_DEP_3) | instskip(NEXT) | instid1(VALU_DEP_3)
	v_fma_f64 v[128:129], v[200:201], s[22:23], v[132:133]
	v_add_f64_e32 v[2:3], v[12:13], v[2:3]
	v_fma_f64 v[12:13], v[192:193], s[30:31], v[16:17]
	v_fma_f64 v[16:17], v[184:185], s[16:17], -v[20:21]
	v_add_f64_e32 v[14:15], v[22:23], v[14:15]
	v_add_f64_e32 v[128:129], v[128:129], v[166:167]
	v_mul_f64_e32 v[22:23], s[16:17], v[180:181]
	s_delay_alu instid0(VALU_DEP_4) | instskip(NEXT) | instid1(VALU_DEP_4)
	v_add_f64_e32 v[2:3], v[16:17], v[2:3]
	v_add_f64_e32 v[14:15], v[26:27], v[14:15]
	s_delay_alu instid0(VALU_DEP_4) | instskip(NEXT) | instid1(VALU_DEP_4)
	v_add_f64_e32 v[18:19], v[18:19], v[128:129]
	v_fma_f64 v[126:127], v[186:187], s[42:43], v[22:23]
	v_mul_f64_e32 v[26:27], s[14:15], v[148:149]
	v_fma_f64 v[16:17], v[186:187], s[38:39], v[22:23]
	v_add_f64_e32 v[160:161], v[30:31], v[14:15]
	v_mul_f64_e32 v[14:15], s[8:9], v[136:137]
	v_add_f64_e32 v[18:19], v[126:127], v[18:19]
	v_fma_f64 v[126:127], v[146:147], s[36:37], v[26:27]
	s_delay_alu instid0(VALU_DEP_3) | instskip(SKIP_1) | instid1(VALU_DEP_3)
	v_fma_f64 v[30:31], v[142:143], s[28:29], v[14:15]
	v_fma_f64 v[14:15], v[142:143], s[26:27], v[14:15]
	v_add_f64_e32 v[18:19], v[126:127], v[18:19]
	v_mul_f64_e32 v[126:127], s[8:9], v[130:131]
	s_delay_alu instid0(VALU_DEP_2) | instskip(SKIP_1) | instid1(VALU_DEP_3)
	v_add_f64_e32 v[162:163], v[30:31], v[18:19]
	v_mul_f64_e32 v[18:19], s[28:29], v[196:197]
	v_fma_f64 v[128:129], v[200:201], s[26:27], v[126:127]
	s_delay_alu instid0(VALU_DEP_2) | instskip(NEXT) | instid1(VALU_DEP_2)
	v_fma_f64 v[30:31], v[198:199], s[8:9], v[18:19]
	v_add_f64_e32 v[128:129], v[128:129], v[170:171]
	v_fma_f64 v[18:19], v[198:199], s[8:9], -v[18:19]
	s_delay_alu instid0(VALU_DEP_3) | instskip(NEXT) | instid1(VALU_DEP_2)
	v_add_f64_e32 v[30:31], v[30:31], v[168:169]
	v_add_f64_e32 v[18:19], v[18:19], v[220:221]
	s_delay_alu instid0(VALU_DEP_2) | instskip(SKIP_2) | instid1(VALU_DEP_4)
	v_add_f64_e32 v[30:31], v[34:35], v[30:31]
	v_mul_f64_e32 v[34:35], s[16:17], v[190:191]
	v_mul_f64_e32 v[190:191], s[8:9], v[190:191]
	v_add_f64_e32 v[18:19], v[32:33], v[18:19]
	s_delay_alu instid0(VALU_DEP_4) | instskip(NEXT) | instid1(VALU_DEP_4)
	v_add_f64_e32 v[30:31], v[38:39], v[30:31]
	v_fma_f64 v[164:165], v[192:193], s[42:43], v[34:35]
	v_mul_f64_e32 v[38:39], s[12:13], v[180:181]
	v_mul_f64_e32 v[180:181], s[14:15], v[180:181]
	v_fma_f64 v[32:33], v[192:193], s[38:39], v[34:35]
	v_fma_f64 v[34:35], v[184:185], s[12:13], -v[36:37]
	v_add_f64_e32 v[30:31], v[42:43], v[30:31]
	v_add_f64_e32 v[128:129], v[164:165], v[128:129]
	v_fma_f64 v[164:165], v[186:187], s[34:35], v[38:39]
	v_mul_f64_e32 v[42:43], s[0:1], v[148:149]
	v_add_f64_e32 v[18:19], v[34:35], v[18:19]
	v_fma_f64 v[34:35], v[186:187], s[40:41], v[38:39]
	s_delay_alu instid0(VALU_DEP_4) | instskip(NEXT) | instid1(VALU_DEP_4)
	v_add_f64_e32 v[128:129], v[164:165], v[128:129]
	v_fma_f64 v[164:165], v[146:147], s[18:19], v[42:43]
	s_delay_alu instid0(VALU_DEP_1) | instskip(SKIP_2) | instid1(VALU_DEP_1)
	v_add_f64_e32 v[128:129], v[164:165], v[128:129]
	v_add_f64_e32 v[164:165], v[46:47], v[30:31]
	v_mul_f64_e32 v[30:31], s[14:15], v[136:137]
	v_fma_f64 v[46:47], v[142:143], s[24:25], v[30:31]
	v_fma_f64 v[30:31], v[142:143], s[36:37], v[30:31]
	s_delay_alu instid0(VALU_DEP_2) | instskip(SKIP_1) | instid1(VALU_DEP_1)
	v_add_f64_e32 v[166:167], v[46:47], v[128:129]
	v_mul_f64_e32 v[46:47], s[34:35], v[196:197]
	v_fma_f64 v[128:129], v[198:199], s[12:13], v[46:47]
	v_fma_f64 v[46:47], v[198:199], s[12:13], -v[46:47]
	s_delay_alu instid0(VALU_DEP_2) | instskip(SKIP_2) | instid1(VALU_DEP_4)
	v_add_f64_e32 v[128:129], v[128:129], v[202:203]
	v_mul_f64_e32 v[202:203], s[12:13], v[130:131]
	v_mul_f64_e32 v[130:131], s[16:17], v[130:131]
	v_add_f64_e32 v[46:47], v[46:47], v[228:229]
	s_delay_alu instid0(VALU_DEP_3) | instskip(NEXT) | instid1(VALU_DEP_1)
	v_fma_f64 v[168:169], v[200:201], s[40:41], v[202:203]
	v_add_f64_e32 v[168:169], v[168:169], v[222:223]
	v_mul_f64_e32 v[222:223], s[24:25], v[194:195]
	v_mul_f64_e32 v[194:195], s[26:27], v[194:195]
	s_delay_alu instid0(VALU_DEP_3) | instskip(NEXT) | instid1(VALU_DEP_3)
	v_add_f64_e32 v[50:51], v[50:51], v[168:169]
	v_fma_f64 v[170:171], v[188:189], s[14:15], v[222:223]
	v_fma_f64 v[168:169], v[184:185], s[0:1], v[172:173]
	s_delay_alu instid0(VALU_DEP_3) | instskip(NEXT) | instid1(VALU_DEP_3)
	v_add_f64_e32 v[50:51], v[54:55], v[50:51]
	v_add_f64_e32 v[128:129], v[170:171], v[128:129]
	v_mul_f64_e32 v[54:55], s[38:39], v[150:151]
	s_delay_alu instid0(VALU_DEP_3) | instskip(NEXT) | instid1(VALU_DEP_3)
	v_add_f64_e32 v[50:51], v[58:59], v[50:51]
	v_add_f64_e32 v[128:129], v[168:169], v[128:129]
	s_delay_alu instid0(VALU_DEP_3) | instskip(SKIP_2) | instid1(VALU_DEP_3)
	v_fma_f64 v[168:169], v[144:145], s[16:17], v[54:55]
	v_mul_f64_e32 v[58:59], s[20:21], v[138:139]
	v_mul_f64_e32 v[138:139], s[34:35], v[138:139]
	v_add_f64_e32 v[128:129], v[168:169], v[128:129]
	s_delay_alu instid0(VALU_DEP_3) | instskip(NEXT) | instid1(VALU_DEP_1)
	v_fma_f64 v[168:169], v[140:141], s[10:11], v[58:59]
	v_add_f64_e32 v[168:169], v[168:169], v[128:129]
	v_mul_f64_e32 v[128:129], s[10:11], v[136:137]
	v_mul_f64_e32 v[136:137], s[12:13], v[136:137]
	s_delay_alu instid0(VALU_DEP_2) | instskip(NEXT) | instid1(VALU_DEP_1)
	v_fma_f64 v[170:171], v[142:143], s[30:31], v[128:129]
	v_add_f64_e32 v[170:171], v[170:171], v[50:51]
	v_mul_f64_e32 v[50:51], s[38:39], v[196:197]
	s_delay_alu instid0(VALU_DEP_1) | instskip(SKIP_1) | instid1(VALU_DEP_2)
	v_fma_f64 v[196:197], v[198:199], s[16:17], v[50:51]
	v_fma_f64 v[50:51], v[198:199], s[16:17], -v[50:51]
	v_add_f64_e32 v[196:197], v[196:197], v[204:205]
	v_fma_f64 v[204:205], v[200:201], s[42:43], v[130:131]
	v_fma_f64 v[130:131], v[200:201], s[38:39], v[130:131]
	s_delay_alu instid0(VALU_DEP_4) | instskip(SKIP_1) | instid1(VALU_DEP_4)
	v_add_f64_e32 v[50:51], v[50:51], v[134:135]
	v_fma_f64 v[134:135], v[142:143], s[34:35], v[136:137]
	v_add_f64_e32 v[204:205], v[204:205], v[224:225]
	v_fma_f64 v[224:225], v[188:189], s[8:9], v[194:195]
	v_add_f64_e32 v[124:125], v[130:131], v[124:125]
	v_fma_f64 v[130:131], v[188:189], s[8:9], -v[194:195]
	s_delay_alu instid0(VALU_DEP_3) | instskip(SKIP_1) | instid1(VALU_DEP_3)
	v_add_f64_e32 v[196:197], v[224:225], v[196:197]
	v_fma_f64 v[224:225], v[192:193], s[28:29], v[190:191]
	v_add_f64_e32 v[50:51], v[130:131], v[50:51]
	v_fma_f64 v[130:131], v[192:193], s[26:27], v[190:191]
	s_delay_alu instid0(VALU_DEP_3) | instskip(SKIP_1) | instid1(VALU_DEP_3)
	v_add_f64_e32 v[204:205], v[224:225], v[204:205]
	v_fma_f64 v[224:225], v[184:185], s[14:15], v[182:183]
	v_add_f64_e32 v[124:125], v[130:131], v[124:125]
	v_fma_f64 v[130:131], v[184:185], s[14:15], -v[182:183]
	s_delay_alu instid0(VALU_DEP_3) | instskip(SKIP_1) | instid1(VALU_DEP_3)
	v_add_f64_e32 v[196:197], v[224:225], v[196:197]
	v_fma_f64 v[224:225], v[186:187], s[24:25], v[180:181]
	v_add_f64_e32 v[50:51], v[130:131], v[50:51]
	v_fma_f64 v[130:131], v[186:187], s[36:37], v[180:181]
	s_delay_alu instid0(VALU_DEP_3) | instskip(SKIP_1) | instid1(VALU_DEP_3)
	v_add_f64_e32 v[204:205], v[224:225], v[204:205]
	v_mul_f64_e32 v[224:225], s[20:21], v[150:151]
	v_add_f64_e32 v[124:125], v[130:131], v[124:125]
	s_delay_alu instid0(VALU_DEP_2) | instskip(SKIP_1) | instid1(VALU_DEP_2)
	v_fma_f64 v[150:151], v[144:145], s[10:11], v[224:225]
	v_fma_f64 v[130:131], v[144:145], s[10:11], -v[224:225]
	v_add_f64_e32 v[150:151], v[150:151], v[196:197]
	v_mul_f64_e32 v[196:197], s[10:11], v[148:149]
	s_delay_alu instid0(VALU_DEP_3) | instskip(NEXT) | instid1(VALU_DEP_2)
	v_add_f64_e32 v[50:51], v[130:131], v[50:51]
	v_fma_f64 v[130:131], v[146:147], s[20:21], v[196:197]
	v_fma_f64 v[148:149], v[146:147], s[30:31], v[196:197]
	s_delay_alu instid0(VALU_DEP_2) | instskip(SKIP_1) | instid1(VALU_DEP_3)
	v_add_f64_e32 v[124:125], v[130:131], v[124:125]
	v_fma_f64 v[130:131], v[140:141], s[12:13], -v[138:139]
	v_add_f64_e32 v[204:205], v[148:149], v[204:205]
	v_fma_f64 v[148:149], v[140:141], s[12:13], v[138:139]
	s_delay_alu instid0(VALU_DEP_4) | instskip(NEXT) | instid1(VALU_DEP_4)
	v_add_f64_e32 v[182:183], v[134:135], v[124:125]
	v_add_f64_e32 v[180:181], v[130:131], v[50:51]
	v_fma_f64 v[50:51], v[200:201], s[34:35], v[202:203]
	v_fma_f64 v[124:125], v[188:189], s[14:15], -v[222:223]
	v_add_f64_e32 v[148:149], v[148:149], v[150:151]
	v_fma_f64 v[150:151], v[142:143], s[40:41], v[136:137]
	s_delay_alu instid0(VALU_DEP_4) | instskip(NEXT) | instid1(VALU_DEP_4)
	v_add_f64_e32 v[50:51], v[50:51], v[212:213]
	v_add_f64_e32 v[46:47], v[124:125], v[46:47]
	s_delay_alu instid0(VALU_DEP_3) | instskip(NEXT) | instid1(VALU_DEP_3)
	v_add_f64_e32 v[150:151], v[150:151], v[204:205]
	v_add_f64_e32 v[48:49], v[48:49], v[50:51]
	v_fma_f64 v[50:51], v[184:185], s[0:1], -v[172:173]
	s_delay_alu instid0(VALU_DEP_1) | instskip(SKIP_2) | instid1(VALU_DEP_2)
	v_add_f64_e32 v[46:47], v[50:51], v[46:47]
	v_fma_f64 v[50:51], v[186:187], s[22:23], v[52:53]
	v_fma_f64 v[52:53], v[142:143], s[20:21], v[128:129]
	v_add_f64_e32 v[48:49], v[50:51], v[48:49]
	v_fma_f64 v[50:51], v[144:145], s[16:17], -v[54:55]
	s_delay_alu instid0(VALU_DEP_1) | instskip(SKIP_1) | instid1(VALU_DEP_1)
	v_add_f64_e32 v[46:47], v[50:51], v[46:47]
	v_fma_f64 v[50:51], v[146:147], s[38:39], v[56:57]
	v_add_f64_e32 v[48:49], v[50:51], v[48:49]
	v_fma_f64 v[50:51], v[140:141], s[10:11], -v[58:59]
	s_delay_alu instid0(VALU_DEP_2) | instskip(NEXT) | instid1(VALU_DEP_2)
	v_add_f64_e32 v[130:131], v[52:53], v[48:49]
	v_add_f64_e32 v[128:129], v[50:51], v[46:47]
	v_fma_f64 v[46:47], v[200:201], s[28:29], v[126:127]
	s_delay_alu instid0(VALU_DEP_1) | instskip(NEXT) | instid1(VALU_DEP_1)
	v_add_f64_e32 v[46:47], v[46:47], v[210:211]
	v_add_f64_e32 v[32:33], v[32:33], v[46:47]
	s_delay_alu instid0(VALU_DEP_1) | instskip(SKIP_2) | instid1(VALU_DEP_2)
	v_add_f64_e32 v[32:33], v[34:35], v[32:33]
	v_fma_f64 v[34:35], v[144:145], s[0:1], -v[40:41]
	v_mov_b32_e32 v40, v60
	v_add_f64_e32 v[18:19], v[34:35], v[18:19]
	v_fma_f64 v[34:35], v[146:147], s[22:23], v[42:43]
	s_delay_alu instid0(VALU_DEP_1) | instskip(SKIP_1) | instid1(VALU_DEP_2)
	v_add_f64_e32 v[32:33], v[34:35], v[32:33]
	v_fma_f64 v[34:35], v[140:141], s[14:15], -v[44:45]
	v_add_f64_e32 v[126:127], v[30:31], v[32:33]
	s_delay_alu instid0(VALU_DEP_2) | instskip(SKIP_1) | instid1(VALU_DEP_1)
	v_add_f64_e32 v[124:125], v[34:35], v[18:19]
	v_fma_f64 v[18:19], v[200:201], s[18:19], v[132:133]
	v_add_f64_e32 v[18:19], v[18:19], v[208:209]
	s_delay_alu instid0(VALU_DEP_1) | instskip(NEXT) | instid1(VALU_DEP_1)
	v_add_f64_e32 v[12:13], v[12:13], v[18:19]
	v_add_f64_e32 v[12:13], v[16:17], v[12:13]
	v_fma_f64 v[16:17], v[144:145], s[14:15], -v[24:25]
	s_delay_alu instid0(VALU_DEP_1) | instskip(SKIP_1) | instid1(VALU_DEP_1)
	v_add_f64_e32 v[2:3], v[16:17], v[2:3]
	v_fma_f64 v[16:17], v[146:147], s[24:25], v[26:27]
	v_add_f64_e32 v[12:13], v[16:17], v[12:13]
	v_fma_f64 v[16:17], v[140:141], s[8:9], -v[28:29]
	s_delay_alu instid0(VALU_DEP_2) | instskip(NEXT) | instid1(VALU_DEP_2)
	v_add_f64_e32 v[134:135], v[14:15], v[12:13]
	v_add_f64_e32 v[132:133], v[16:17], v[2:3]
	v_fma_f64 v[2:3], v[198:199], s[10:11], -v[250:251]
	v_fma_f64 v[12:13], v[200:201], s[20:21], v[252:253]
	v_fma_f64 v[14:15], v[188:189], s[0:1], -v[254:255]
	s_delay_alu instid0(VALU_DEP_3) | instskip(NEXT) | instid1(VALU_DEP_3)
	v_add_f64_e32 v[2:3], v[2:3], v[216:217]
	v_add_f64_e32 v[12:13], v[12:13], v[206:207]
	s_delay_alu instid0(VALU_DEP_2) | instskip(SKIP_1) | instid1(VALU_DEP_1)
	v_add_f64_e32 v[2:3], v[14:15], v[2:3]
	v_fma_f64 v[14:15], v[192:193], s[18:19], v[174:175]
	v_add_f64_e32 v[12:13], v[14:15], v[12:13]
	v_fma_f64 v[14:15], v[184:185], s[8:9], -v[177:178]
	s_delay_alu instid0(VALU_DEP_2) | instskip(NEXT) | instid1(VALU_DEP_2)
	v_add_f64_e32 v[0:1], v[0:1], v[12:13]
	v_add_f64_e32 v[2:3], v[14:15], v[2:3]
	s_delay_alu instid0(VALU_DEP_1) | instskip(SKIP_2) | instid1(VALU_DEP_2)
	v_add_f64_e32 v[2:3], v[4:5], v[2:3]
	v_fma_f64 v[4:5], v[146:147], s[34:35], v[8:9]
	v_fma_f64 v[8:9], v[184:185], s[10:11], v[238:239]
	v_add_f64_e32 v[0:1], v[4:5], v[0:1]
	v_fma_f64 v[4:5], v[140:141], s[16:17], -v[10:11]
	v_fma_f64 v[10:11], v[186:187], s[30:31], v[240:241]
	s_delay_alu instid0(VALU_DEP_3) | instskip(NEXT) | instid1(VALU_DEP_3)
	v_add_f64_e32 v[138:139], v[6:7], v[0:1]
	v_add_f64_e32 v[136:137], v[4:5], v[2:3]
	v_fma_f64 v[0:1], v[198:199], s[14:15], v[230:231]
	v_fma_f64 v[2:3], v[200:201], s[36:37], v[232:233]
	;; [unrolled: 1-line block ×4, first 2 shown]
	s_delay_alu instid0(VALU_DEP_4) | instskip(NEXT) | instid1(VALU_DEP_4)
	v_add_f64_e32 v[0:1], v[0:1], v[226:227]
	v_add_f64_e32 v[2:3], v[2:3], v[214:215]
	s_delay_alu instid0(VALU_DEP_2) | instskip(NEXT) | instid1(VALU_DEP_2)
	v_add_f64_e32 v[0:1], v[4:5], v[0:1]
	v_add_f64_e32 v[2:3], v[6:7], v[2:3]
	v_fma_f64 v[4:5], v[144:145], s[8:9], v[242:243]
	v_fma_f64 v[6:7], v[146:147], s[28:29], v[244:245]
	s_delay_alu instid0(VALU_DEP_4) | instskip(NEXT) | instid1(VALU_DEP_4)
	v_add_f64_e32 v[0:1], v[8:9], v[0:1]
	v_add_f64_e32 v[2:3], v[10:11], v[2:3]
	v_fma_f64 v[8:9], v[140:141], s[0:1], v[246:247]
	v_fma_f64 v[10:11], v[142:143], s[22:23], v[248:249]
	s_delay_alu instid0(VALU_DEP_4) | instskip(NEXT) | instid1(VALU_DEP_4)
	v_add_f64_e32 v[0:1], v[4:5], v[0:1]
	v_add_f64_e32 v[2:3], v[6:7], v[2:3]
	s_delay_alu instid0(VALU_DEP_2) | instskip(NEXT) | instid1(VALU_DEP_2)
	v_add_f64_e32 v[140:141], v[8:9], v[0:1]
	v_add_f64_e32 v[142:143], v[10:11], v[2:3]
	ds_store_b128 v179, v[156:159] offset:32
	ds_store_b128 v179, v[160:163] offset:48
	;; [unrolled: 1-line block ×12, first 2 shown]
	ds_store_b128 v179, v[152:155]
	global_wb scope:SCOPE_SE
	s_wait_dscnt 0x0
	s_barrier_signal -1
	s_barrier_wait -1
	global_inv scope:SCOPE_SE
	ds_load_b128 v[140:143], v60
	ds_load_b128 v[168:171], v176 offset:208
	ds_load_b128 v[156:159], v176 offset:416
	;; [unrolled: 1-line block ×7, first 2 shown]
	s_and_saveexec_b32 s0, vcc_lo
	s_cbranch_execz .LBB0_7
; %bb.6:
	ds_load_b128 v[124:127], v176 offset:336
	ds_load_b128 v[132:135], v176 offset:544
	;; [unrolled: 1-line block ×8, first 2 shown]
.LBB0_7:
	s_wait_alu 0xfffe
	s_or_b32 exec_lo, exec_lo, s0
	s_wait_dscnt 0x6
	v_mul_f64_e32 v[0:1], v[90:91], v[170:171]
	v_mul_f64_e32 v[2:3], v[90:91], v[168:169]
	s_wait_dscnt 0x5
	v_mul_f64_e32 v[4:5], v[86:87], v[158:159]
	v_mul_f64_e32 v[6:7], v[86:87], v[156:157]
	;; [unrolled: 3-line block ×4, first 2 shown]
	v_mul_f64_e32 v[16:17], v[102:103], v[154:155]
	v_mul_f64_e32 v[18:19], v[102:103], v[152:153]
	;; [unrolled: 1-line block ×4, first 2 shown]
	s_wait_dscnt 0x0
	v_mul_f64_e32 v[24:25], v[106:107], v[150:151]
	v_mul_f64_e32 v[26:27], v[106:107], v[148:149]
	s_mov_b32 s0, 0x667f3bcd
	s_mov_b32 s1, 0xbfe6a09e
	;; [unrolled: 1-line block ×3, first 2 shown]
	s_wait_alu 0xfffe
	s_mov_b32 s8, s0
	v_fma_f64 v[0:1], v[88:89], v[168:169], v[0:1]
	v_fma_f64 v[2:3], v[88:89], v[170:171], -v[2:3]
	v_fma_f64 v[4:5], v[84:85], v[156:157], v[4:5]
	v_fma_f64 v[6:7], v[84:85], v[158:159], -v[6:7]
	;; [unrolled: 2-line block ×7, first 2 shown]
	v_add_f64_e64 v[8:9], v[140:141], -v[8:9]
	v_add_f64_e64 v[10:11], v[142:143], -v[10:11]
	;; [unrolled: 1-line block ×8, first 2 shown]
	v_fma_f64 v[28:29], v[140:141], 2.0, -v[8:9]
	v_fma_f64 v[30:31], v[142:143], 2.0, -v[10:11]
	;; [unrolled: 1-line block ×6, first 2 shown]
	v_add_f64_e32 v[14:15], v[8:9], v[14:15]
	v_add_f64_e64 v[12:13], v[10:11], -v[12:13]
	v_fma_f64 v[20:21], v[20:21], 2.0, -v[24:25]
	v_fma_f64 v[22:23], v[22:23], 2.0, -v[26:27]
	v_add_f64_e32 v[26:27], v[16:17], v[26:27]
	v_add_f64_e64 v[24:25], v[18:19], -v[24:25]
	v_add_f64_e64 v[4:5], v[28:29], -v[4:5]
	;; [unrolled: 1-line block ×3, first 2 shown]
	v_fma_f64 v[8:9], v[8:9], 2.0, -v[14:15]
	v_fma_f64 v[10:11], v[10:11], 2.0, -v[12:13]
	v_add_f64_e64 v[20:21], v[0:1], -v[20:21]
	v_add_f64_e64 v[22:23], v[2:3], -v[22:23]
	v_fma_f64 v[16:17], v[16:17], 2.0, -v[26:27]
	v_fma_f64 v[18:19], v[18:19], 2.0, -v[24:25]
	s_wait_alu 0xfffe
	v_fma_f64 v[36:37], v[26:27], s[8:9], v[14:15]
	v_fma_f64 v[38:39], v[24:25], s[8:9], v[12:13]
	v_fma_f64 v[28:29], v[28:29], 2.0, -v[4:5]
	v_fma_f64 v[30:31], v[30:31], 2.0, -v[6:7]
	;; [unrolled: 1-line block ×4, first 2 shown]
	v_fma_f64 v[32:33], v[16:17], s[0:1], v[8:9]
	v_fma_f64 v[34:35], v[18:19], s[0:1], v[10:11]
	v_add_f64_e32 v[80:81], v[4:5], v[22:23]
	v_add_f64_e64 v[82:83], v[6:7], -v[20:21]
	v_fma_f64 v[92:93], v[24:25], s[8:9], v[36:37]
	v_fma_f64 v[94:95], v[26:27], s[0:1], v[38:39]
	v_add_f64_e64 v[84:85], v[28:29], -v[0:1]
	v_add_f64_e64 v[86:87], v[30:31], -v[2:3]
	v_fma_f64 v[88:89], v[18:19], s[8:9], v[32:33]
	v_fma_f64 v[90:91], v[16:17], s[0:1], v[34:35]
	v_fma_f64 v[96:97], v[4:5], 2.0, -v[80:81]
	v_fma_f64 v[98:99], v[6:7], 2.0, -v[82:83]
	;; [unrolled: 1-line block ×8, first 2 shown]
	ds_store_b128 v40, v[100:103]
	ds_store_b128 v176, v[104:107] offset:208
	ds_store_b128 v176, v[96:99] offset:416
	;; [unrolled: 1-line block ×7, first 2 shown]
	s_and_saveexec_b32 s10, vcc_lo
	s_cbranch_execz .LBB0_9
; %bb.8:
	s_clause 0x2
	scratch_load_b128 v[28:31], off, off offset:220 th:TH_LOAD_LU
	scratch_load_b128 v[32:35], off, off offset:236 th:TH_LOAD_LU
	;; [unrolled: 1-line block ×3, first 2 shown]
	v_mul_f64_e32 v[4:5], v[70:71], v[110:111]
	v_mul_f64_e32 v[8:9], v[74:75], v[112:113]
	;; [unrolled: 1-line block ×8, first 2 shown]
	v_fma_f64 v[4:5], v[68:69], v[108:109], v[4:5]
	v_fma_f64 v[8:9], v[72:73], v[114:115], -v[8:9]
	v_fma_f64 v[10:11], v[64:65], v[136:137], v[10:11]
	v_fma_f64 v[12:13], v[76:77], v[116:117], v[12:13]
	v_fma_f64 v[14:15], v[64:65], v[138:139], -v[14:15]
	v_fma_f64 v[16:17], v[76:77], v[118:119], -v[16:17]
	v_fma_f64 v[20:21], v[72:73], v[112:113], v[20:21]
	v_fma_f64 v[24:25], v[68:69], v[110:111], -v[24:25]
	v_add_f64_e64 v[12:13], v[10:11], -v[12:13]
	s_delay_alu instid0(VALU_DEP_4) | instskip(NEXT) | instid1(VALU_DEP_1)
	v_add_f64_e64 v[16:17], v[14:15], -v[16:17]
	v_fma_f64 v[14:15], v[14:15], 2.0, -v[16:17]
	s_wait_loadcnt 0x2
	v_mul_f64_e32 v[0:1], v[30:31], v[120:121]
	s_wait_loadcnt 0x1
	v_mul_f64_e32 v[2:3], v[34:35], v[134:135]
	;; [unrolled: 2-line block ×3, first 2 shown]
	v_mul_f64_e32 v[18:19], v[38:39], v[126:127]
	v_mul_f64_e32 v[22:23], v[34:35], v[132:133]
	;; [unrolled: 1-line block ×3, first 2 shown]
	v_fma_f64 v[0:1], v[28:29], v[122:123], -v[0:1]
	v_fma_f64 v[2:3], v[32:33], v[132:133], v[2:3]
	v_fma_f64 v[6:7], v[36:37], v[126:127], -v[6:7]
	v_fma_f64 v[18:19], v[36:37], v[124:125], v[18:19]
	;; [unrolled: 2-line block ×3, first 2 shown]
	v_add_f64_e64 v[0:1], v[130:131], -v[0:1]
	v_add_f64_e64 v[4:5], v[2:3], -v[4:5]
	;; [unrolled: 1-line block ×6, first 2 shown]
	v_fma_f64 v[36:37], v[130:131], 2.0, -v[0:1]
	v_add_f64_e64 v[28:29], v[0:1], -v[4:5]
	v_add_f64_e64 v[30:31], v[8:9], -v[12:13]
	v_add_f64_e32 v[32:33], v[16:17], v[20:21]
	v_fma_f64 v[22:23], v[22:23], 2.0, -v[24:25]
	v_add_f64_e32 v[34:35], v[24:25], v[26:27]
	v_fma_f64 v[18:19], v[18:19], 2.0, -v[20:21]
	v_fma_f64 v[24:25], v[128:129], 2.0, -v[26:27]
	;; [unrolled: 1-line block ×8, first 2 shown]
	v_add_f64_e64 v[16:17], v[36:37], -v[22:23]
	v_fma_f64 v[12:13], v[26:27], 2.0, -v[34:35]
	v_fma_f64 v[20:21], v[30:31], s[8:9], v[28:29]
	v_fma_f64 v[22:23], v[32:33], s[8:9], v[34:35]
	v_add_f64_e64 v[14:15], v[6:7], -v[14:15]
	v_add_f64_e64 v[2:3], v[24:25], -v[2:3]
	;; [unrolled: 1-line block ×3, first 2 shown]
	v_fma_f64 v[26:27], v[8:9], s[0:1], v[0:1]
	v_fma_f64 v[36:37], v[36:37], 2.0, -v[16:17]
	v_fma_f64 v[38:39], v[10:11], s[0:1], v[12:13]
	v_fma_f64 v[54:55], v[32:33], s[0:1], v[20:21]
	;; [unrolled: 1-line block ×3, first 2 shown]
	v_fma_f64 v[6:7], v[6:7], 2.0, -v[14:15]
	v_fma_f64 v[24:25], v[24:25], 2.0, -v[2:3]
	;; [unrolled: 1-line block ×3, first 2 shown]
	v_add_f64_e64 v[58:59], v[16:17], -v[4:5]
	v_mov_b32_e32 v4, v61
	v_add_f64_e32 v[56:57], v[2:3], v[14:15]
	v_fma_f64 v[62:63], v[10:11], s[0:1], v[26:27]
	v_fma_f64 v[60:61], v[8:9], s[8:9], v[38:39]
	v_fma_f64 v[70:71], v[28:29], 2.0, -v[54:55]
	v_fma_f64 v[68:69], v[34:35], 2.0, -v[52:53]
	v_add_f64_e64 v[66:67], v[36:37], -v[6:7]
	v_add_f64_e64 v[64:65], v[24:25], -v[18:19]
	v_fma_f64 v[74:75], v[16:17], 2.0, -v[58:59]
	ds_store_b128 v176, v[68:71] offset:752
	ds_store_b128 v176, v[64:67] offset:960
	;; [unrolled: 1-line block ×3, first 2 shown]
	v_fma_f64 v[78:79], v[0:1], 2.0, -v[62:63]
	v_fma_f64 v[76:77], v[12:13], 2.0, -v[60:61]
	;; [unrolled: 1-line block ×5, first 2 shown]
	v_mov_b32_e32 v61, v4
	ds_store_b128 v176, v[56:59] offset:1376
	ds_store_b128 v176, v[76:79] offset:336
	;; [unrolled: 1-line block ×5, first 2 shown]
.LBB0_9:
	s_wait_alu 0xfffe
	s_or_b32 exec_lo, exec_lo, s10
	global_wb scope:SCOPE_SE
	s_wait_dscnt 0x0
	s_barrier_signal -1
	s_barrier_wait -1
	global_inv scope:SCOPE_SE
	ds_load_b128 v[52:55], v40
	ds_load_b128 v[56:59], v61 offset:128
	s_clause 0x1
	scratch_load_b64 v[0:1], off, off offset:4 th:TH_LOAD_LU
	scratch_load_b32 v18, off, off th:TH_LOAD_LU
	ds_load_b128 v[60:63], v176 offset:256
	ds_load_b128 v[64:67], v176 offset:384
	;; [unrolled: 1-line block ×3, first 2 shown]
	s_clause 0x1
	scratch_load_b128 v[108:111], off, off offset:28 th:TH_LOAD_LU
	scratch_load_b128 v[104:107], off, off offset:12 th:TH_LOAD_LU
	ds_load_b128 v[72:75], v176 offset:640
	ds_load_b128 v[76:79], v176 offset:768
	;; [unrolled: 1-line block ×8, first 2 shown]
	s_mov_b32 s0, 0x13b13b14
	s_mov_b32 s1, 0x3f83b13b
	s_lshl_b64 s[8:9], s[4:5], 7
	s_wait_loadcnt 0x3
	v_mov_b32_e32 v16, v0
	s_wait_loadcnt 0x2
	v_mad_co_u64_u32 v[2:3], null, s4, v18, 0
	s_wait_loadcnt_dscnt 0x10c
	v_mul_f64_e32 v[4:5], v[110:111], v[54:55]
	v_mul_f64_e32 v[6:7], v[110:111], v[52:53]
	scratch_load_b128 v[110:113], off, off offset:44 th:TH_LOAD_LU ; 16-byte Folded Reload
	s_wait_loadcnt_dscnt 0x10b
	v_mul_f64_e32 v[8:9], v[106:107], v[58:59]
	v_mul_f64_e32 v[10:11], v[106:107], v[56:57]
	v_mad_co_u64_u32 v[0:1], null, s6, v16, 0
	s_delay_alu instid0(VALU_DEP_1) | instskip(NEXT) | instid1(VALU_DEP_1)
	v_mad_co_u64_u32 v[16:17], null, s7, v16, v[1:2]
	v_mov_b32_e32 v1, v16
	s_delay_alu instid0(VALU_DEP_1) | instskip(NEXT) | instid1(VALU_DEP_1)
	v_lshlrev_b64_e32 v[0:1], 4, v[0:1]
	v_add_co_u32 v0, vcc_lo, s2, v0
	s_wait_alu 0xfffd
	s_delay_alu instid0(VALU_DEP_2)
	v_add_co_ci_u32_e32 v1, vcc_lo, s3, v1, vcc_lo
	v_mad_co_u64_u32 v[17:18], null, s5, v18, v[3:4]
	v_fma_f64 v[4:5], v[108:109], v[52:53], v[4:5]
	v_fma_f64 v[8:9], v[104:105], v[56:57], v[8:9]
	v_fma_f64 v[10:11], v[104:105], v[58:59], -v[10:11]
	scratch_load_b128 v[104:107], off, off offset:204 th:TH_LOAD_LU ; 16-byte Folded Reload
	v_fma_f64 v[6:7], v[108:109], v[54:55], -v[6:7]
	v_mov_b32_e32 v3, v17
	s_delay_alu instid0(VALU_DEP_1) | instskip(NEXT) | instid1(VALU_DEP_1)
	v_lshlrev_b64_e32 v[2:3], 4, v[2:3]
	v_add_co_u32 v56, vcc_lo, v0, v2
	s_wait_alu 0xfffd
	s_delay_alu instid0(VALU_DEP_2) | instskip(SKIP_1) | instid1(VALU_DEP_2)
	v_add_co_ci_u32_e32 v57, vcc_lo, v1, v3, vcc_lo
	s_wait_alu 0xfffe
	v_add_co_u32 v58, vcc_lo, v56, s8
	s_wait_alu 0xfffd
	s_delay_alu instid0(VALU_DEP_2)
	v_add_co_ci_u32_e32 v59, vcc_lo, s9, v57, vcc_lo
	v_mul_f64_e32 v[0:1], s[0:1], v[4:5]
	v_mul_f64_e32 v[4:5], s[0:1], v[8:9]
	;; [unrolled: 1-line block ×4, first 2 shown]
	s_wait_loadcnt_dscnt 0x10a
	v_mul_f64_e32 v[12:13], v[112:113], v[62:63]
	v_mul_f64_e32 v[14:15], v[112:113], v[60:61]
	scratch_load_b128 v[112:115], off, off offset:60 th:TH_LOAD_LU ; 16-byte Folded Reload
	v_fma_f64 v[12:13], v[110:111], v[60:61], v[12:13]
	v_fma_f64 v[14:15], v[110:111], v[62:63], -v[14:15]
	v_add_co_u32 v62, vcc_lo, v58, s8
	s_wait_loadcnt_dscnt 0x100
	v_mul_f64_e32 v[52:53], v[106:107], v[102:103]
	v_mul_f64_e32 v[54:55], v[106:107], v[100:101]
	s_wait_alu 0xfffd
	v_add_co_ci_u32_e32 v63, vcc_lo, s9, v59, vcc_lo
	v_mul_f64_e32 v[8:9], s[0:1], v[12:13]
	v_mul_f64_e32 v[10:11], s[0:1], v[14:15]
	v_fma_f64 v[52:53], v[104:105], v[100:101], v[52:53]
	v_fma_f64 v[54:55], v[104:105], v[102:103], -v[54:55]
	s_wait_loadcnt 0x0
	v_mul_f64_e32 v[18:19], v[114:115], v[66:67]
	v_mul_f64_e32 v[20:21], v[114:115], v[64:65]
	scratch_load_b128 v[114:117], off, off offset:76 th:TH_LOAD_LU ; 16-byte Folded Reload
	v_fma_f64 v[18:19], v[112:113], v[64:65], v[18:19]
	v_fma_f64 v[20:21], v[112:113], v[66:67], -v[20:21]
	v_add_co_u32 v64, vcc_lo, v62, s8
	s_wait_alu 0xfffd
	v_add_co_ci_u32_e32 v65, vcc_lo, s9, v63, vcc_lo
	s_delay_alu instid0(VALU_DEP_2) | instskip(SKIP_1) | instid1(VALU_DEP_2)
	v_add_co_u32 v66, vcc_lo, v64, s8
	s_wait_alu 0xfffd
	v_add_co_ci_u32_e32 v67, vcc_lo, s9, v65, vcc_lo
	v_mul_f64_e32 v[12:13], s[0:1], v[18:19]
	v_mul_f64_e32 v[14:15], s[0:1], v[20:21]
	s_wait_loadcnt 0x0
	v_mul_f64_e32 v[22:23], v[116:117], v[70:71]
	v_mul_f64_e32 v[24:25], v[116:117], v[68:69]
	scratch_load_b128 v[116:119], off, off offset:92 th:TH_LOAD_LU ; 16-byte Folded Reload
	v_fma_f64 v[22:23], v[114:115], v[68:69], v[22:23]
	v_fma_f64 v[24:25], v[114:115], v[70:71], -v[24:25]
	v_add_co_u32 v68, vcc_lo, v66, s8
	s_wait_alu 0xfffd
	v_add_co_ci_u32_e32 v69, vcc_lo, s9, v67, vcc_lo
	s_delay_alu instid0(VALU_DEP_3)
	v_mul_f64_e32 v[18:19], s[0:1], v[24:25]
	s_wait_loadcnt 0x0
	v_mul_f64_e32 v[26:27], v[118:119], v[74:75]
	v_mul_f64_e32 v[28:29], v[118:119], v[72:73]
	scratch_load_b128 v[118:121], off, off offset:108 th:TH_LOAD_LU ; 16-byte Folded Reload
	v_fma_f64 v[26:27], v[116:117], v[72:73], v[26:27]
	v_fma_f64 v[28:29], v[116:117], v[74:75], -v[28:29]
	s_delay_alu instid0(VALU_DEP_2)
	v_mul_f64_e32 v[20:21], s[0:1], v[26:27]
	s_wait_loadcnt 0x0
	v_mul_f64_e32 v[30:31], v[120:121], v[78:79]
	v_mul_f64_e32 v[32:33], v[120:121], v[76:77]
	scratch_load_b128 v[120:123], off, off offset:124 th:TH_LOAD_LU ; 16-byte Folded Reload
	v_fma_f64 v[30:31], v[118:119], v[76:77], v[30:31]
	v_fma_f64 v[32:33], v[118:119], v[78:79], -v[32:33]
	s_delay_alu instid0(VALU_DEP_2) | instskip(NEXT) | instid1(VALU_DEP_2)
	v_mul_f64_e32 v[24:25], s[0:1], v[30:31]
	v_mul_f64_e32 v[26:27], s[0:1], v[32:33]
	s_wait_loadcnt 0x0
	v_mul_f64_e32 v[34:35], v[122:123], v[82:83]
	v_mul_f64_e32 v[36:37], v[122:123], v[80:81]
	scratch_load_b128 v[122:125], off, off offset:140 th:TH_LOAD_LU ; 16-byte Folded Reload
	v_fma_f64 v[34:35], v[120:121], v[80:81], v[34:35]
	v_fma_f64 v[36:37], v[120:121], v[82:83], -v[36:37]
	s_delay_alu instid0(VALU_DEP_1)
	v_mul_f64_e32 v[30:31], s[0:1], v[36:37]
	s_wait_loadcnt 0x0
	v_mul_f64_e32 v[38:39], v[124:125], v[86:87]
	v_mul_f64_e32 v[40:41], v[124:125], v[84:85]
	scratch_load_b128 v[124:127], off, off offset:156 th:TH_LOAD_LU ; 16-byte Folded Reload
	v_fma_f64 v[38:39], v[122:123], v[84:85], v[38:39]
	v_fma_f64 v[40:41], v[122:123], v[86:87], -v[40:41]
	s_delay_alu instid0(VALU_DEP_2)
	v_mul_f64_e32 v[32:33], s[0:1], v[38:39]
	s_wait_loadcnt 0x0
	v_mul_f64_e32 v[42:43], v[126:127], v[90:91]
	v_mul_f64_e32 v[44:45], v[126:127], v[88:89]
	scratch_load_b128 v[126:129], off, off offset:172 th:TH_LOAD_LU ; 16-byte Folded Reload
	v_fma_f64 v[42:43], v[124:125], v[88:89], v[42:43]
	v_fma_f64 v[44:45], v[124:125], v[90:91], -v[44:45]
	s_delay_alu instid0(VALU_DEP_2) | instskip(NEXT) | instid1(VALU_DEP_2)
	v_mul_f64_e32 v[36:37], s[0:1], v[42:43]
	v_mul_f64_e32 v[38:39], s[0:1], v[44:45]
	;; [unrolled: 1-line block ×3, first 2 shown]
	v_add_co_u32 v44, vcc_lo, v68, s8
	s_wait_alu 0xfffd
	v_add_co_ci_u32_e32 v45, vcc_lo, s9, v69, vcc_lo
	s_wait_loadcnt 0x0
	v_mul_f64_e32 v[46:47], v[128:129], v[94:95]
	v_mul_f64_e32 v[48:49], v[128:129], v[92:93]
	scratch_load_b128 v[128:131], off, off offset:188 th:TH_LOAD_LU ; 16-byte Folded Reload
	s_clause 0x2
	global_store_b128 v[56:57], v[0:3], off
	global_store_b128 v[58:59], v[4:7], off
	global_store_b128 v[62:63], v[8:11], off
	v_add_co_u32 v8, vcc_lo, v44, s8
	s_wait_alu 0xfffd
	v_add_co_ci_u32_e32 v9, vcc_lo, s9, v45, vcc_lo
	global_store_b128 v[64:65], v[12:15], off
	v_add_co_u32 v10, vcc_lo, v8, s8
	s_wait_alu 0xfffd
	v_add_co_ci_u32_e32 v11, vcc_lo, s9, v9, vcc_lo
	s_delay_alu instid0(VALU_DEP_2) | instskip(SKIP_1) | instid1(VALU_DEP_2)
	v_add_co_u32 v12, vcc_lo, v10, s8
	s_wait_alu 0xfffd
	v_add_co_ci_u32_e32 v13, vcc_lo, s9, v11, vcc_lo
	s_delay_alu instid0(VALU_DEP_2) | instskip(SKIP_1) | instid1(VALU_DEP_2)
	v_add_co_u32 v14, vcc_lo, v12, s8
	s_wait_alu 0xfffd
	v_add_co_ci_u32_e32 v15, vcc_lo, s9, v13, vcc_lo
	v_fma_f64 v[46:47], v[126:127], v[92:93], v[46:47]
	v_fma_f64 v[48:49], v[126:127], v[94:95], -v[48:49]
	s_delay_alu instid0(VALU_DEP_2) | instskip(NEXT) | instid1(VALU_DEP_2)
	v_mul_f64_e32 v[0:1], s[0:1], v[46:47]
	v_mul_f64_e32 v[2:3], s[0:1], v[48:49]
	s_wait_loadcnt 0x0
	v_mul_f64_e32 v[50:51], v[130:131], v[98:99]
	v_mul_f64_e32 v[16:17], v[130:131], v[96:97]
	s_delay_alu instid0(VALU_DEP_2) | instskip(NEXT) | instid1(VALU_DEP_2)
	v_fma_f64 v[50:51], v[128:129], v[96:97], v[50:51]
	v_fma_f64 v[60:61], v[128:129], v[98:99], -v[16:17]
	v_mul_f64_e32 v[16:17], s[0:1], v[22:23]
	v_mul_f64_e32 v[22:23], s[0:1], v[28:29]
	;; [unrolled: 1-line block ×7, first 2 shown]
	global_store_b128 v[66:67], v[16:19], off
	v_add_co_u32 v16, vcc_lo, v14, s8
	s_wait_alu 0xfffd
	v_add_co_ci_u32_e32 v17, vcc_lo, s9, v15, vcc_lo
	global_store_b128 v[68:69], v[20:23], off
	global_store_b128 v[44:45], v[24:27], off
	;; [unrolled: 1-line block ×3, first 2 shown]
	v_add_co_u32 v8, vcc_lo, v16, s8
	s_wait_alu 0xfffd
	v_add_co_ci_u32_e32 v9, vcc_lo, s9, v17, vcc_lo
	global_store_b128 v[10:11], v[32:35], off
	global_store_b128 v[12:13], v[36:39], off
	;; [unrolled: 1-line block ×5, first 2 shown]
.LBB0_10:
	s_nop 0
	s_sendmsg sendmsg(MSG_DEALLOC_VGPRS)
	s_endpgm
	.section	.rodata,"a",@progbits
	.p2align	6, 0x0
	.amdhsa_kernel bluestein_single_fwd_len104_dim1_dp_op_CI_CI
		.amdhsa_group_segment_fixed_size 13312
		.amdhsa_private_segment_fixed_size 272
		.amdhsa_kernarg_size 104
		.amdhsa_user_sgpr_count 2
		.amdhsa_user_sgpr_dispatch_ptr 0
		.amdhsa_user_sgpr_queue_ptr 0
		.amdhsa_user_sgpr_kernarg_segment_ptr 1
		.amdhsa_user_sgpr_dispatch_id 0
		.amdhsa_user_sgpr_private_segment_size 0
		.amdhsa_wavefront_size32 1
		.amdhsa_uses_dynamic_stack 0
		.amdhsa_enable_private_segment 1
		.amdhsa_system_sgpr_workgroup_id_x 1
		.amdhsa_system_sgpr_workgroup_id_y 0
		.amdhsa_system_sgpr_workgroup_id_z 0
		.amdhsa_system_sgpr_workgroup_info 0
		.amdhsa_system_vgpr_workitem_id 0
		.amdhsa_next_free_vgpr 256
		.amdhsa_next_free_sgpr 44
		.amdhsa_reserve_vcc 1
		.amdhsa_float_round_mode_32 0
		.amdhsa_float_round_mode_16_64 0
		.amdhsa_float_denorm_mode_32 3
		.amdhsa_float_denorm_mode_16_64 3
		.amdhsa_fp16_overflow 0
		.amdhsa_workgroup_processor_mode 1
		.amdhsa_memory_ordered 1
		.amdhsa_forward_progress 0
		.amdhsa_round_robin_scheduling 0
		.amdhsa_exception_fp_ieee_invalid_op 0
		.amdhsa_exception_fp_denorm_src 0
		.amdhsa_exception_fp_ieee_div_zero 0
		.amdhsa_exception_fp_ieee_overflow 0
		.amdhsa_exception_fp_ieee_underflow 0
		.amdhsa_exception_fp_ieee_inexact 0
		.amdhsa_exception_int_div_zero 0
	.end_amdhsa_kernel
	.text
.Lfunc_end0:
	.size	bluestein_single_fwd_len104_dim1_dp_op_CI_CI, .Lfunc_end0-bluestein_single_fwd_len104_dim1_dp_op_CI_CI
                                        ; -- End function
	.section	.AMDGPU.csdata,"",@progbits
; Kernel info:
; codeLenInByte = 13408
; NumSgprs: 46
; NumVgprs: 256
; ScratchSize: 272
; MemoryBound: 0
; FloatMode: 240
; IeeeMode: 1
; LDSByteSize: 13312 bytes/workgroup (compile time only)
; SGPRBlocks: 5
; VGPRBlocks: 31
; NumSGPRsForWavesPerEU: 46
; NumVGPRsForWavesPerEU: 256
; Occupancy: 5
; WaveLimiterHint : 1
; COMPUTE_PGM_RSRC2:SCRATCH_EN: 1
; COMPUTE_PGM_RSRC2:USER_SGPR: 2
; COMPUTE_PGM_RSRC2:TRAP_HANDLER: 0
; COMPUTE_PGM_RSRC2:TGID_X_EN: 1
; COMPUTE_PGM_RSRC2:TGID_Y_EN: 0
; COMPUTE_PGM_RSRC2:TGID_Z_EN: 0
; COMPUTE_PGM_RSRC2:TIDIG_COMP_CNT: 0
	.text
	.p2alignl 7, 3214868480
	.fill 96, 4, 3214868480
	.type	__hip_cuid_4f408b145e20539d,@object ; @__hip_cuid_4f408b145e20539d
	.section	.bss,"aw",@nobits
	.globl	__hip_cuid_4f408b145e20539d
__hip_cuid_4f408b145e20539d:
	.byte	0                               ; 0x0
	.size	__hip_cuid_4f408b145e20539d, 1

	.ident	"AMD clang version 19.0.0git (https://github.com/RadeonOpenCompute/llvm-project roc-6.4.0 25133 c7fe45cf4b819c5991fe208aaa96edf142730f1d)"
	.section	".note.GNU-stack","",@progbits
	.addrsig
	.addrsig_sym __hip_cuid_4f408b145e20539d
	.amdgpu_metadata
---
amdhsa.kernels:
  - .args:
      - .actual_access:  read_only
        .address_space:  global
        .offset:         0
        .size:           8
        .value_kind:     global_buffer
      - .actual_access:  read_only
        .address_space:  global
        .offset:         8
        .size:           8
        .value_kind:     global_buffer
      - .actual_access:  read_only
        .address_space:  global
        .offset:         16
        .size:           8
        .value_kind:     global_buffer
      - .actual_access:  read_only
        .address_space:  global
        .offset:         24
        .size:           8
        .value_kind:     global_buffer
      - .actual_access:  read_only
        .address_space:  global
        .offset:         32
        .size:           8
        .value_kind:     global_buffer
      - .offset:         40
        .size:           8
        .value_kind:     by_value
      - .address_space:  global
        .offset:         48
        .size:           8
        .value_kind:     global_buffer
      - .address_space:  global
        .offset:         56
        .size:           8
        .value_kind:     global_buffer
      - .address_space:  global
        .offset:         64
        .size:           8
        .value_kind:     global_buffer
      - .address_space:  global
        .offset:         72
        .size:           8
        .value_kind:     global_buffer
      - .offset:         80
        .size:           4
        .value_kind:     by_value
      - .address_space:  global
        .offset:         88
        .size:           8
        .value_kind:     global_buffer
      - .address_space:  global
        .offset:         96
        .size:           8
        .value_kind:     global_buffer
    .group_segment_fixed_size: 13312
    .kernarg_segment_align: 8
    .kernarg_segment_size: 104
    .language:       OpenCL C
    .language_version:
      - 2
      - 0
    .max_flat_workgroup_size: 64
    .name:           bluestein_single_fwd_len104_dim1_dp_op_CI_CI
    .private_segment_fixed_size: 272
    .sgpr_count:     46
    .sgpr_spill_count: 0
    .symbol:         bluestein_single_fwd_len104_dim1_dp_op_CI_CI.kd
    .uniform_work_group_size: 1
    .uses_dynamic_stack: false
    .vgpr_count:     256
    .vgpr_spill_count: 67
    .wavefront_size: 32
    .workgroup_processor_mode: 1
amdhsa.target:   amdgcn-amd-amdhsa--gfx1201
amdhsa.version:
  - 1
  - 2
...

	.end_amdgpu_metadata
